;; amdgpu-corpus repo=ROCm/rocFFT kind=compiled arch=gfx950 opt=O3
	.text
	.amdgcn_target "amdgcn-amd-amdhsa--gfx950"
	.amdhsa_code_object_version 6
	.protected	bluestein_single_back_len135_dim1_half_op_CI_CI ; -- Begin function bluestein_single_back_len135_dim1_half_op_CI_CI
	.globl	bluestein_single_back_len135_dim1_half_op_CI_CI
	.p2align	8
	.type	bluestein_single_back_len135_dim1_half_op_CI_CI,@function
bluestein_single_back_len135_dim1_half_op_CI_CI: ; @bluestein_single_back_len135_dim1_half_op_CI_CI
; %bb.0:
	s_load_dwordx4 s[16:19], s[0:1], 0x28
	v_mul_u32_u24_e32 v1, 0x1c72, v0
	v_lshrrev_b32_e32 v2, 16, v1
	v_mad_u64_u32 v[18:19], s[2:3], s2, 14, v[2:3]
	v_mov_b32_e32 v19, 0
	s_waitcnt lgkmcnt(0)
	v_cmp_gt_u64_e32 vcc, s[16:17], v[18:19]
	s_and_saveexec_b64 s[2:3], vcc
	s_cbranch_execz .LBB0_2
; %bb.1:
	s_load_dwordx4 s[4:7], s[0:1], 0x18
	s_load_dwordx4 s[8:11], s[0:1], 0x0
	v_mul_lo_u16_e32 v1, 9, v2
	v_sub_u16_e32 v0, v0, v1
	v_mov_b32_e32 v4, s18
	s_waitcnt lgkmcnt(0)
	s_load_dwordx4 s[12:15], s[4:5], 0x0
	v_mov_b32_e32 v5, s19
	v_lshlrev_b32_e32 v58, 2, v0
	global_load_dword v57, v58, s[8:9]
	v_mov_b32_e32 v40, 0x6c
	s_waitcnt lgkmcnt(0)
	v_mad_u64_u32 v[2:3], s[2:3], s14, v18, 0
	v_mov_b32_e32 v6, v3
	v_mad_u64_u32 v[6:7], s[2:3], s15, v18, v[6:7]
	v_mov_b32_e32 v3, v6
	v_mad_u64_u32 v[6:7], s[2:3], s12, v0, 0
	v_mov_b32_e32 v8, v7
	v_mad_u64_u32 v[8:9], s[2:3], s13, v0, v[8:9]
	v_mov_b32_e32 v7, v8
	v_lshl_add_u64 v[2:3], v[2:3], 2, v[4:5]
	v_lshl_add_u64 v[2:3], v[6:7], 2, v[2:3]
	global_load_dword v4, v[2:3], off
	v_mad_u64_u32 v[2:3], s[2:3], s12, v40, v[2:3]
	s_mul_i32 s15, s13, 0x6c
	v_add_u32_e32 v3, s15, v3
	global_load_dword v5, v[2:3], off
	global_load_dword v56, v58, s[8:9] offset:108
	v_lshrrev_b32_e32 v1, 1, v18
	s_mov_b32 s2, 0x92492493
	s_mov_b32 s3, 0
	v_mul_hi_u32 v6, v1, s2
	v_mov_b32_e32 v1, s3
	v_mad_u64_u32 v[2:3], s[2:3], s12, v40, v[2:3]
	v_add_u32_e32 v3, s15, v3
	global_load_dword v7, v[2:3], off
	global_load_dword v55, v58, s[8:9] offset:216
	v_mad_u64_u32 v[2:3], s[16:17], s12, v40, v[2:3]
	s_load_dwordx4 s[4:7], s[6:7], 0x0
	global_load_dword v54, v58, s[8:9] offset:324
	global_load_dword v53, v58, s[8:9] offset:432
	v_add_u32_e32 v3, s15, v3
	global_load_dword v8, v[2:3], off
	global_load_dword v52, v58, s[8:9] offset:36
	global_load_dword v51, v58, s[8:9] offset:144
	;; [unrolled: 1-line block ×3, first 2 shown]
	v_mad_u64_u32 v[2:3], s[16:17], s12, v40, v[2:3]
	v_add_u32_e32 v3, s15, v3
	global_load_dword v9, v[2:3], off
	global_load_dword v49, v58, s[8:9] offset:360
	v_mov_b32_e32 v44, 0xfffffe74
	s_add_u32 s2, s8, 0x21c
	s_mulk_i32 s13, 0xfe74
	v_lshrrev_b32_e32 v6, 2, v6
	s_addc_u32 s3, s9, 0
	s_sub_i32 s13, s13, s12
	v_mad_u64_u32 v[2:3], s[16:17], s12, v44, v[2:3]
	v_mul_lo_u32 v6, v6, 14
	v_add_u32_e32 v3, s13, v3
	v_sub_u32_e32 v6, v18, v6
	global_load_dword v10, v[2:3], off
	global_load_dword v45, v58, s[8:9] offset:180
	global_load_dword v47, v58, s[8:9] offset:72
	v_mad_u64_u32 v[2:3], s[16:17], s12, v40, v[2:3]
	v_mul_u32_u24_e32 v6, 0x87, v6
	v_add_u32_e32 v3, s15, v3
	v_lshlrev_b32_e32 v24, 2, v6
	global_load_dword v6, v[2:3], off
	v_mad_u64_u32 v[2:3], s[16:17], s12, v40, v[2:3]
	v_add_u32_e32 v3, s15, v3
	global_load_dword v11, v[2:3], off
	v_mad_u64_u32 v[2:3], s[16:17], s12, v40, v[2:3]
	v_add_u32_e32 v3, s15, v3
	;; [unrolled: 3-line block ×3, first 2 shown]
	global_load_dword v13, v[2:3], off
	v_mad_u64_u32 v[2:3], s[16:17], s12, v44, v[2:3]
	global_load_dword v48, v58, s[8:9] offset:468
	v_add_u32_e32 v3, s13, v3
	v_add_u32_e32 v41, v58, v24
	s_mov_b32 s14, 0xffff
	v_lshl_add_u64 v[34:35], v[0:1], 0, 18
	v_cmp_gt_u16_e32 vcc, 5, v0
	s_movk_i32 s18, 0xcd
	v_lshl_add_u64 v[38:39], v[0:1], 0, 27
	v_lshl_add_u64 v[36:37], v[0:1], 0, 36
	s_movk_i32 s20, 0x89
	s_load_dwordx2 s[0:1], s[0:1], 0x38
	s_waitcnt vmcnt(20)
	v_lshrrev_b32_e32 v14, 16, v4
	v_mul_f16_sdwa v15, v57, v4 dst_sel:DWORD dst_unused:UNUSED_PAD src0_sel:WORD_1 src1_sel:DWORD
	v_mul_f16_sdwa v16, v57, v14 dst_sel:DWORD dst_unused:UNUSED_PAD src0_sel:WORD_1 src1_sel:DWORD
	v_fma_f16 v14, v57, v14, -v15
	v_fma_f16 v4, v57, v4, v16
	v_pack_b32_f16 v4, v4, v14
	global_load_dword v14, v[2:3], off
	v_mad_u64_u32 v[2:3], s[16:17], s12, v40, v[2:3]
	v_add_u32_e32 v3, s15, v3
	global_load_dword v17, v[2:3], off
	s_waitcnt vmcnt(21)
	v_lshrrev_b32_e32 v15, 16, v5
	s_waitcnt vmcnt(20)
	v_mul_f16_sdwa v16, v56, v15 dst_sel:DWORD dst_unused:UNUSED_PAD src0_sel:WORD_1 src1_sel:DWORD
	v_mad_u64_u32 v[2:3], s[16:17], s12, v40, v[2:3]
	v_fma_f16 v16, v56, v5, v16
	v_mul_f16_sdwa v5, v56, v5 dst_sel:DWORD dst_unused:UNUSED_PAD src0_sel:WORD_1 src1_sel:DWORD
	v_add_u32_e32 v3, s15, v3
	v_fma_f16 v5, v56, v15, -v5
	global_load_dword v15, v[2:3], off
	global_load_dword v42, v58, s[8:9] offset:504
	global_load_dword v43, v58, s[8:9] offset:396
	;; [unrolled: 1-line block ×3, first 2 shown]
	v_mad_u64_u32 v[2:3], s[16:17], s12, v40, v[2:3]
	v_pack_b32_f16 v5, v16, v5
	v_add_u32_e32 v3, s15, v3
	ds_write_b32 v41, v5 offset:108
	global_load_dword v5, v[2:3], off
	v_mad_u64_u32 v[2:3], s[12:13], s12, v40, v[2:3]
	v_add_u32_e32 v3, s15, v3
	global_load_dword v2, v[2:3], off
	s_waitcnt vmcnt(25)
	v_lshrrev_b32_e32 v16, 16, v7
	s_waitcnt vmcnt(24)
	v_mul_f16_sdwa v20, v55, v16 dst_sel:DWORD dst_unused:UNUSED_PAD src0_sel:WORD_1 src1_sel:DWORD
	v_mul_f16_sdwa v3, v55, v7 dst_sel:DWORD dst_unused:UNUSED_PAD src0_sel:WORD_1 src1_sel:DWORD
	v_fma_f16 v20, v55, v7, v20
	v_fma_f16 v3, v55, v16, -v3
	v_pack_b32_f16 v3, v20, v3
	ds_write_b32 v41, v3 offset:216
	s_waitcnt vmcnt(21)
	v_lshrrev_b32_e32 v3, 16, v8
	v_mul_f16_sdwa v7, v54, v3 dst_sel:DWORD dst_unused:UNUSED_PAD src0_sel:WORD_1 src1_sel:DWORD
	v_fma_f16 v7, v54, v8, v7
	v_mul_f16_sdwa v8, v54, v8 dst_sel:DWORD dst_unused:UNUSED_PAD src0_sel:WORD_1 src1_sel:DWORD
	v_fma_f16 v3, v54, v3, -v8
	v_pack_b32_f16 v3, v7, v3
	ds_write_b32 v41, v3 offset:324
	s_waitcnt vmcnt(17)
	v_lshrrev_b32_e32 v3, 16, v9
	v_mul_f16_sdwa v7, v53, v3 dst_sel:DWORD dst_unused:UNUSED_PAD src0_sel:WORD_1 src1_sel:DWORD
	v_mul_f16_sdwa v8, v53, v9 dst_sel:DWORD dst_unused:UNUSED_PAD src0_sel:WORD_1 src1_sel:DWORD
	v_fma_f16 v7, v53, v9, v7
	v_fma_f16 v3, v53, v3, -v8
	v_pack_b32_f16 v3, v7, v3
	ds_write_b32 v41, v3 offset:432
	s_waitcnt vmcnt(15)
	v_lshrrev_b32_e32 v3, 16, v10
	v_mul_f16_sdwa v7, v52, v3 dst_sel:DWORD dst_unused:UNUSED_PAD src0_sel:WORD_1 src1_sel:DWORD
	v_mul_f16_sdwa v8, v52, v10 dst_sel:DWORD dst_unused:UNUSED_PAD src0_sel:WORD_1 src1_sel:DWORD
	v_fma_f16 v7, v52, v10, v7
	v_fma_f16 v3, v52, v3, -v8
	v_pack_b32_f16 v3, v7, v3
	ds_write2_b32 v41, v4, v3 offset1:9
	s_waitcnt vmcnt(12)
	v_lshrrev_b32_e32 v3, 16, v6
	v_mul_f16_sdwa v4, v51, v3 dst_sel:DWORD dst_unused:UNUSED_PAD src0_sel:WORD_1 src1_sel:DWORD
	v_fma_f16 v4, v51, v6, v4
	v_mul_f16_sdwa v6, v51, v6 dst_sel:DWORD dst_unused:UNUSED_PAD src0_sel:WORD_1 src1_sel:DWORD
	v_fma_f16 v3, v51, v3, -v6
	v_pack_b32_f16 v3, v4, v3
	s_waitcnt vmcnt(11)
	v_lshrrev_b32_e32 v4, 16, v11
	v_mul_f16_sdwa v6, v50, v4 dst_sel:DWORD dst_unused:UNUSED_PAD src0_sel:WORD_1 src1_sel:DWORD
	v_mul_f16_sdwa v7, v50, v11 dst_sel:DWORD dst_unused:UNUSED_PAD src0_sel:WORD_1 src1_sel:DWORD
	v_fma_f16 v6, v50, v11, v6
	v_fma_f16 v4, v50, v4, -v7
	v_pack_b32_f16 v4, v6, v4
	s_waitcnt vmcnt(10)
	v_lshrrev_b32_e32 v6, 16, v12
	v_mul_f16_sdwa v7, v49, v6 dst_sel:DWORD dst_unused:UNUSED_PAD src0_sel:WORD_1 src1_sel:DWORD
	v_mul_f16_sdwa v8, v49, v12 dst_sel:DWORD dst_unused:UNUSED_PAD src0_sel:WORD_1 src1_sel:DWORD
	v_fma_f16 v7, v49, v12, v7
	v_fma_f16 v6, v49, v6, -v8
	v_pack_b32_f16 v6, v7, v6
	s_waitcnt vmcnt(9)
	v_lshrrev_b32_e32 v7, 16, v13
	s_waitcnt vmcnt(8)
	v_mul_f16_sdwa v8, v48, v7 dst_sel:DWORD dst_unused:UNUSED_PAD src0_sel:WORD_1 src1_sel:DWORD
	v_mul_f16_sdwa v9, v48, v13 dst_sel:DWORD dst_unused:UNUSED_PAD src0_sel:WORD_1 src1_sel:DWORD
	v_fma_f16 v8, v48, v13, v8
	v_fma_f16 v7, v48, v7, -v9
	v_pack_b32_f16 v7, v8, v7
	v_lshl_add_u64 v[20:21], v[0:1], 0, 9
	s_movk_i32 s15, 0x3b9c
	s_movk_i32 s16, 0x38b4
	;; [unrolled: 1-line block ×3, first 2 shown]
	s_waitcnt vmcnt(7)
	v_lshrrev_b32_e32 v8, 16, v14
	v_mul_f16_sdwa v9, v47, v8 dst_sel:DWORD dst_unused:UNUSED_PAD src0_sel:WORD_1 src1_sel:DWORD
	v_mul_f16_sdwa v10, v47, v14 dst_sel:DWORD dst_unused:UNUSED_PAD src0_sel:WORD_1 src1_sel:DWORD
	v_fma_f16 v9, v47, v14, v9
	v_fma_f16 v8, v47, v8, -v10
	v_pack_b32_f16 v8, v9, v8
	ds_write_b32 v41, v8 offset:72
	s_waitcnt vmcnt(6)
	v_lshrrev_b32_e32 v8, 16, v17
	v_mul_f16_sdwa v9, v45, v8 dst_sel:DWORD dst_unused:UNUSED_PAD src0_sel:WORD_1 src1_sel:DWORD
	v_mul_f16_sdwa v10, v45, v17 dst_sel:DWORD dst_unused:UNUSED_PAD src0_sel:WORD_1 src1_sel:DWORD
	v_fma_f16 v9, v45, v17, v9
	v_fma_f16 v8, v45, v8, -v10
	v_pack_b32_f16 v8, v9, v8
	ds_write2_b32 v41, v3, v8 offset0:36 offset1:45
	s_waitcnt vmcnt(5)
	v_lshrrev_b32_e32 v3, 16, v15
	s_waitcnt vmcnt(2)
	v_mul_f16_sdwa v8, v46, v3 dst_sel:DWORD dst_unused:UNUSED_PAD src0_sel:WORD_1 src1_sel:DWORD
	v_mul_f16_sdwa v9, v46, v15 dst_sel:DWORD dst_unused:UNUSED_PAD src0_sel:WORD_1 src1_sel:DWORD
	v_fma_f16 v8, v46, v15, v8
	v_fma_f16 v3, v46, v3, -v9
	v_pack_b32_f16 v3, v8, v3
	ds_write2_b32 v41, v4, v3 offset0:63 offset1:72
	s_waitcnt vmcnt(1)
	v_lshrrev_b32_e32 v3, 16, v5
	v_mul_f16_sdwa v4, v43, v3 dst_sel:DWORD dst_unused:UNUSED_PAD src0_sel:WORD_1 src1_sel:DWORD
	v_fma_f16 v4, v43, v5, v4
	v_mul_f16_sdwa v5, v43, v5 dst_sel:DWORD dst_unused:UNUSED_PAD src0_sel:WORD_1 src1_sel:DWORD
	v_fma_f16 v3, v43, v3, -v5
	v_pack_b32_f16 v3, v4, v3
	ds_write2_b32 v41, v6, v3 offset0:90 offset1:99
	s_waitcnt vmcnt(0)
	v_lshrrev_b32_e32 v3, 16, v2
	v_mul_f16_sdwa v4, v42, v3 dst_sel:DWORD dst_unused:UNUSED_PAD src0_sel:WORD_1 src1_sel:DWORD
	v_fma_f16 v4, v42, v2, v4
	v_mul_f16_sdwa v2, v42, v2 dst_sel:DWORD dst_unused:UNUSED_PAD src0_sel:WORD_1 src1_sel:DWORD
	v_fma_f16 v2, v42, v3, -v2
	v_pack_b32_f16 v2, v4, v2
	ds_write2_b32 v41, v7, v2 offset0:117 offset1:126
	v_mul_lo_u16_e32 v2, 5, v0
	v_mul_u32_u24_e32 v10, 5, v20
	s_waitcnt lgkmcnt(0)
	s_barrier
	v_lshl_add_u32 v61, v2, 2, v24
	ds_read2_b32 v[2:3], v41 offset0:36 offset1:45
	ds_read2_b32 v[4:5], v41 offset0:54 offset1:63
	;; [unrolled: 1-line block ×4, first 2 shown]
	v_lshl_add_u32 v59, v10, 2, v24
	ds_read2_b32 v[10:11], v41 offset1:9
	s_waitcnt lgkmcnt(3)
	v_pk_add_f16 v22, v2, v5 neg_lo:[0,1] neg_hi:[0,1]
	s_waitcnt lgkmcnt(2)
	v_pk_add_f16 v12, v5, v6 neg_lo:[0,1] neg_hi:[0,1]
	;; [unrolled: 2-line block ×3, first 2 shown]
	v_pk_add_f16 v14, v2, v9
	v_pk_add_f16 v23, v5, v2 neg_lo:[0,1] neg_hi:[0,1]
	s_waitcnt lgkmcnt(0)
	v_pk_add_f16 v2, v11, v2
	v_pk_add_f16 v15, v5, v6
	v_pk_fma_f16 v14, v14, 0.5, v11 op_sel_hi:[1,0,1] neg_lo:[1,0,0] neg_hi:[1,0,0]
	v_pk_mul_f16 v17, v12, s15 op_sel_hi:[1,0]
	v_pk_add_f16 v2, v2, v5
	v_pk_fma_f16 v15, v15, 0.5, v11 op_sel_hi:[1,0,1] neg_lo:[1,0,0] neg_hi:[1,0,0]
	v_pk_mul_f16 v16, v13, s15 op_sel_hi:[1,0]
	v_pk_mul_f16 v13, v13, s16 op_sel_hi:[1,0]
	v_pk_add_f16 v25, v9, v6 neg_lo:[0,1] neg_hi:[0,1]
	v_pk_add_f16 v26, v6, v9 neg_lo:[0,1] neg_hi:[0,1]
	v_pk_add_f16 v2, v2, v6
	v_pk_add_f16 v5, v14, v17 op_sel:[0,1] op_sel_hi:[1,0]
	v_pk_add_f16 v6, v14, v17 op_sel:[0,1] op_sel_hi:[1,0] neg_lo:[0,1] neg_hi:[0,1]
	v_pk_mul_f16 v12, v12, s16 op_sel_hi:[1,0]
	v_pk_add_f16 v5, v5, v13 op_sel:[0,1] op_sel_hi:[1,0] neg_lo:[0,1] neg_hi:[0,1]
	v_pk_add_f16 v6, v6, v13 op_sel:[0,1] op_sel_hi:[1,0]
	v_pk_add_f16 v11, v15, v16 op_sel:[0,1] op_sel_hi:[1,0] neg_lo:[0,1] neg_hi:[0,1]
	v_pk_add_f16 v13, v15, v16 op_sel:[0,1] op_sel_hi:[1,0]
	;; [unrolled: 2-line block ×3, first 2 shown]
	v_pk_add_f16 v22, v22, v25
	v_bfi_b32 v13, s14, v11, v12
	v_mul_u32_u24_e32 v14, 5, v34
	v_pk_add_f16 v2, v2, v9
	v_bfi_b32 v9, s14, v5, v6
	v_pk_fma_f16 v16, v22, s17, v13 op_sel_hi:[1,0,1]
	v_bfi_b32 v11, s14, v12, v11
	v_bfi_b32 v5, s14, v6, v5
	ds_read2_b32 v[12:13], v41 offset0:72 offset1:81
	ds_read_b32 v6, v41 offset:504
	v_lshl_add_u32 v60, v14, 2, v24
	ds_read2_b32 v[14:15], v41 offset0:18 offset1:27
	v_pk_add_f16 v23, v23, v26
	v_pk_fma_f16 v11, v22, s17, v11 op_sel_hi:[1,0,1]
	v_pk_fma_f16 v9, v23, s17, v9 op_sel_hi:[1,0,1]
	;; [unrolled: 1-line block ×3, first 2 shown]
	s_waitcnt lgkmcnt(1)
	v_pk_add_f16 v22, v3, v6 neg_lo:[0,1] neg_hi:[0,1]
	v_pk_add_f16 v23, v3, v6
	v_pk_add_f16 v28, v3, v12 neg_lo:[0,1] neg_hi:[0,1]
	v_pk_add_f16 v29, v12, v3 neg_lo:[0,1] neg_hi:[0,1]
	s_waitcnt lgkmcnt(0)
	v_pk_add_f16 v3, v14, v3
	v_pk_add_f16 v17, v12, v7 neg_lo:[0,1] neg_hi:[0,1]
	v_pk_add_f16 v3, v3, v12
	v_pk_add_f16 v25, v12, v7
	v_pk_fma_f16 v23, v23, 0.5, v14 op_sel_hi:[1,0,1] neg_lo:[1,0,0] neg_hi:[1,0,0]
	v_pk_mul_f16 v27, v17, s15 op_sel_hi:[1,0]
	v_pk_add_f16 v30, v7, v6 neg_lo:[0,1] neg_hi:[0,1]
	v_pk_add_f16 v3, v3, v7
	v_pk_fma_f16 v25, v25, 0.5, v14 op_sel_hi:[1,0,1] neg_lo:[1,0,0] neg_hi:[1,0,0]
	v_pk_mul_f16 v26, v22, s15 op_sel_hi:[1,0]
	v_pk_mul_f16 v22, v22, s16 op_sel_hi:[1,0]
	v_pk_add_f16 v29, v29, v30
	v_pk_add_f16 v30, v6, v7 neg_lo:[0,1] neg_hi:[0,1]
	v_pk_add_f16 v3, v3, v6
	v_pk_add_f16 v6, v23, v27 op_sel:[0,1] op_sel_hi:[1,0]
	v_pk_add_f16 v7, v23, v27 op_sel:[0,1] op_sel_hi:[1,0] neg_lo:[0,1] neg_hi:[0,1]
	v_pk_add_f16 v6, v6, v22 op_sel:[0,1] op_sel_hi:[1,0] neg_lo:[0,1] neg_hi:[0,1]
	v_pk_add_f16 v7, v7, v22 op_sel:[0,1] op_sel_hi:[1,0]
	v_pk_add_f16 v14, v25, v26 op_sel:[0,1] op_sel_hi:[1,0] neg_lo:[0,1] neg_hi:[0,1]
	v_pk_add_f16 v22, v25, v26 op_sel:[0,1] op_sel_hi:[1,0]
	v_pk_add_f16 v26, v15, v8
	v_pk_add_f16 v27, v4, v13
	v_pk_add_f16 v25, v15, v8 neg_lo:[0,1] neg_hi:[0,1]
	v_pk_fma_f16 v27, v27, 0.5, v10 op_sel_hi:[1,0,1] neg_lo:[1,0,0] neg_hi:[1,0,0]
	v_pk_fma_f16 v26, v26, 0.5, v10 op_sel_hi:[1,0,1] neg_lo:[1,0,0] neg_hi:[1,0,0]
	v_pk_add_f16 v10, v10, v15
	v_pk_add_f16 v31, v15, v4 neg_lo:[0,1] neg_hi:[0,1]
	v_pk_add_f16 v15, v4, v15 neg_lo:[0,1] neg_hi:[0,1]
	;; [unrolled: 1-line block ×4, first 2 shown]
	v_pk_add_f16 v15, v15, v32
	v_pk_add_f16 v32, v8, v13 neg_lo:[0,1] neg_hi:[0,1]
	v_pk_add_f16 v4, v10, v4
	v_pk_add_f16 v31, v31, v32
	v_pk_mul_f16 v32, v23, s15 op_sel_hi:[1,0]
	v_pk_add_f16 v4, v4, v13
	v_pk_add_f16 v28, v28, v30
	v_pk_mul_f16 v30, v25, s15 op_sel_hi:[1,0]
	v_pk_mul_f16 v25, v25, s16 op_sel_hi:[1,0]
	v_pk_add_f16 v4, v4, v8
	v_pk_add_f16 v8, v26, v32 op_sel:[0,1] op_sel_hi:[1,0]
	v_pk_add_f16 v10, v26, v32 op_sel:[0,1] op_sel_hi:[1,0] neg_lo:[0,1] neg_hi:[0,1]
	v_pk_mul_f16 v23, v23, s16 op_sel_hi:[1,0]
	v_pk_add_f16 v8, v8, v25 op_sel:[0,1] op_sel_hi:[1,0] neg_lo:[0,1] neg_hi:[0,1]
	v_pk_add_f16 v10, v10, v25 op_sel:[0,1] op_sel_hi:[1,0]
	v_pk_add_f16 v25, v27, v30 op_sel:[0,1] op_sel_hi:[1,0] neg_lo:[0,1] neg_hi:[0,1]
	v_pk_add_f16 v26, v27, v30 op_sel:[0,1] op_sel_hi:[1,0]
	;; [unrolled: 2-line block ×3, first 2 shown]
	v_pk_mul_f16 v17, v17, s16 op_sel_hi:[1,0]
	v_bfi_b32 v26, s14, v25, v23
	v_bfi_b32 v23, s14, v23, v25
	v_pk_fma_f16 v23, v31, s17, v23 op_sel_hi:[1,0,1]
	s_barrier
	ds_write2_b32 v61, v4, v23 offset1:1
	v_bfi_b32 v4, s14, v10, v8
	v_pk_add_f16 v14, v14, v17 op_sel:[0,1] op_sel_hi:[1,0] neg_lo:[0,1] neg_hi:[0,1]
	v_pk_add_f16 v17, v22, v17 op_sel:[0,1] op_sel_hi:[1,0]
	v_bfi_b32 v13, s14, v8, v10
	v_pk_fma_f16 v4, v15, s17, v4 op_sel_hi:[1,0,1]
	v_pk_fma_f16 v26, v31, s17, v26 op_sel_hi:[1,0,1]
	v_pk_fma_f16 v13, v15, s17, v13 op_sel_hi:[1,0,1]
	ds_write_b32 v61, v4 offset:8
	ds_write2_b32 v61, v13, v26 offset0:3 offset1:4
	ds_write2_b32 v59, v2, v11 offset1:1
	ds_write_b32 v59, v5 offset:8
	ds_write2_b32 v59, v9, v16 offset0:3 offset1:4
	v_bfi_b32 v2, s14, v17, v14
	v_pk_fma_f16 v2, v28, s17, v2 op_sel_hi:[1,0,1]
	ds_write2_b32 v60, v3, v2 offset1:1
	v_bfi_b32 v2, s14, v7, v6
	v_bfi_b32 v12, s14, v6, v7
	;; [unrolled: 1-line block ×3, first 2 shown]
	v_pk_fma_f16 v2, v29, s17, v2 op_sel_hi:[1,0,1]
	v_pk_fma_f16 v22, v28, s17, v22 op_sel_hi:[1,0,1]
	;; [unrolled: 1-line block ×3, first 2 shown]
	ds_write_b32 v60, v2 offset:8
	ds_write2_b32 v60, v12, v22 offset0:3 offset1:4
	v_lshl_add_u64 v[2:3], v[0:1], 0, -5
	v_cndmask_b32_e64 v5, v3, 0, vcc
	v_cndmask_b32_e32 v4, v2, v0, vcc
	v_lshl_add_u64 v[2:3], v[4:5], 3, s[10:11]
	s_waitcnt lgkmcnt(0)
	s_barrier
	global_load_dwordx2 v[6:7], v[2:3], off
	v_mul_lo_u16_sdwa v2, v20, s18 dst_sel:DWORD dst_unused:UNUSED_PAD src0_sel:BYTE_0 src1_sel:DWORD
	v_lshrrev_b16_e32 v25, 10, v2
	v_mul_lo_u16_e32 v2, 5, v25
	v_sub_u16_e32 v32, v20, v2
	v_lshlrev_b16_e32 v2, 1, v32
	v_and_b32_e32 v2, 0xfe, v2
	v_lshlrev_b32_e32 v2, 2, v2
	v_mul_lo_u16_sdwa v10, v34, s18 dst_sel:DWORD dst_unused:UNUSED_PAD src0_sel:BYTE_0 src1_sel:DWORD
	global_load_dwordx2 v[8:9], v2, s[10:11]
	v_lshrrev_b16_e32 v33, 10, v10
	v_mul_lo_u16_e32 v10, 5, v33
	v_sub_u16_e32 v35, v34, v10
	v_lshlrev_b16_e32 v10, 1, v35
	v_and_b32_e32 v10, 0xfe, v10
	v_lshlrev_b32_e32 v26, 2, v10
	v_mul_lo_u16_sdwa v10, v38, s18 dst_sel:DWORD dst_unused:UNUSED_PAD src0_sel:BYTE_0 src1_sel:DWORD
	v_lshrrev_b16_e32 v39, 10, v10
	v_mul_lo_u16_e32 v10, 5, v39
	v_sub_u16_e32 v64, v38, v10
	v_lshlrev_b16_e32 v10, 1, v64
	v_and_b32_e32 v10, 0xfe, v10
	ds_read2_b32 v[14:15], v41 offset1:9
	ds_read2_b32 v[2:3], v41 offset0:36 offset1:45
	ds_read2_b32 v[22:23], v41 offset0:90 offset1:99
	v_lshlrev_b32_e32 v27, 2, v10
	global_load_dwordx2 v[10:11], v26, s[10:11]
	global_load_dwordx2 v[12:13], v27, s[10:11]
	v_cmp_lt_u16_e32 vcc, 4, v0
	s_waitcnt lgkmcnt(1)
	v_lshrrev_b32_e32 v16, 16, v3
	v_lshrrev_b32_e32 v5, 16, v14
	v_cndmask_b32_e64 v27, 0, 15, vcc
	s_waitcnt lgkmcnt(0)
	v_lshrrev_b32_e32 v17, 16, v22
	v_add_u32_e32 v62, v4, v27
	s_movk_i32 s12, 0x3aee
	s_mov_b32 s13, 0xbaee
	v_lshl_add_u32 v37, v62, 2, v24
	v_lshrrev_b32_e32 v62, 16, v23
	ds_read_b32 v69, v41 offset:504
	v_cmp_gt_u16_e32 vcc, 6, v0
	s_waitcnt vmcnt(3)
	v_mul_f16_sdwa v26, v3, v6 dst_sel:DWORD dst_unused:UNUSED_PAD src0_sel:DWORD src1_sel:WORD_1
	v_fma_f16 v26, v16, v6, v26
	v_mul_f16_sdwa v4, v22, v7 dst_sel:DWORD dst_unused:UNUSED_PAD src0_sel:DWORD src1_sel:WORD_1
	v_mul_f16_sdwa v16, v16, v6 dst_sel:DWORD dst_unused:UNUSED_PAD src0_sel:DWORD src1_sel:WORD_1
	v_fma_f16 v4, v17, v7, v4
	v_add_f16_e32 v27, v5, v26
	v_fma_f16 v3, v3, v6, -v16
	v_mul_f16_sdwa v16, v17, v7 dst_sel:DWORD dst_unused:UNUSED_PAD src0_sel:DWORD src1_sel:WORD_1
	v_add_f16_e32 v27, v27, v4
	v_sub_f16_e32 v63, v26, v4
	v_add_f16_e32 v4, v26, v4
	v_fma_f16 v16, v22, v7, -v16
	v_fma_f16 v22, v4, -0.5, v5
	v_add_f16_e32 v4, v14, v3
	v_add_f16_e32 v5, v3, v16
	;; [unrolled: 1-line block ×3, first 2 shown]
	v_sub_f16_e32 v3, v3, v16
	v_fma_f16 v14, v5, -0.5, v14
	v_pack_b32_f16 v65, v4, v27
	v_fma_f16 v4, v63, s12, v14
	v_fma_f16 v5, v3, s13, v22
	v_pack_b32_f16 v66, v4, v5
	v_mul_lo_u16_sdwa v4, v36, s18 dst_sel:DWORD dst_unused:UNUSED_PAD src0_sel:BYTE_0 src1_sel:DWORD
	v_lshrrev_b16_e32 v67, 10, v4
	v_mul_lo_u16_e32 v4, 5, v67
	v_sub_u16_e32 v68, v36, v4
	v_lshlrev_b16_e32 v4, 1, v68
	v_and_b32_e32 v4, 0xfe, v4
	v_lshlrev_b32_e32 v4, 2, v4
	global_load_dwordx2 v[16:17], v4, s[10:11]
	ds_read2_b32 v[4:5], v41 offset0:54 offset1:63
	ds_read2_b32 v[26:27], v41 offset0:18 offset1:27
	;; [unrolled: 1-line block ×4, first 2 shown]
	s_waitcnt lgkmcnt(0)
	s_barrier
	ds_write2_b32 v37, v65, v66 offset1:5
	s_waitcnt vmcnt(3)
	v_mul_f16_sdwa v65, v62, v9 dst_sel:DWORD dst_unused:UNUSED_PAD src0_sel:DWORD src1_sel:WORD_1
	v_fma_f16 v65, v23, v9, -v65
	v_mul_f16_sdwa v23, v23, v9 dst_sel:DWORD dst_unused:UNUSED_PAD src0_sel:DWORD src1_sel:WORD_1
	v_fma_f16 v23, v62, v9, v23
	v_fma_f16 v3, v3, s12, v22
	v_lshrrev_b32_e32 v22, 16, v4
	v_mul_f16_sdwa v62, v4, v8 dst_sel:DWORD dst_unused:UNUSED_PAD src0_sel:DWORD src1_sel:WORD_1
	v_fma_f16 v62, v22, v8, v62
	v_mul_f16_sdwa v22, v22, v8 dst_sel:DWORD dst_unused:UNUSED_PAD src0_sel:DWORD src1_sel:WORD_1
	v_fma_f16 v14, v63, s13, v14
	v_fma_f16 v4, v4, v8, -v22
	v_lshrrev_b32_e32 v63, 16, v15
	v_add_f16_e32 v22, v4, v65
	v_add_f16_e32 v66, v63, v62
	v_fma_f16 v22, v22, -0.5, v15
	v_add_f16_e32 v15, v15, v4
	v_add_f16_e32 v66, v66, v23
	v_sub_f16_e32 v70, v62, v23
	v_add_f16_e32 v23, v62, v23
	v_pack_b32_f16 v3, v14, v3
	v_fma_f16 v23, v23, -0.5, v63
	v_add_f16_e32 v15, v15, v65
	v_sub_f16_e32 v4, v4, v65
	ds_write_b32 v37, v3 offset:40
	v_mad_legacy_u16 v3, v25, 15, v32
	v_pack_b32_f16 v14, v15, v66
	v_fma_f16 v15, v70, s12, v22
	v_fma_f16 v25, v4, s13, v23
	v_and_b32_e32 v3, 0xff, v3
	v_pack_b32_f16 v15, v15, v25
	v_lshl_add_u32 v62, v3, 2, v24
	v_lshrrev_b32_e32 v3, 16, v5
	ds_write2_b32 v62, v14, v15 offset1:5
	s_waitcnt vmcnt(2)
	v_mul_f16_sdwa v14, v3, v10 dst_sel:DWORD dst_unused:UNUSED_PAD src0_sel:DWORD src1_sel:WORD_1
	v_fma_f16 v14, v5, v10, -v14
	v_mul_f16_sdwa v5, v5, v10 dst_sel:DWORD dst_unused:UNUSED_PAD src0_sel:DWORD src1_sel:WORD_1
	v_fma_f16 v3, v3, v10, v5
	v_fma_f16 v5, v70, s13, v22
	v_lshrrev_b32_e32 v15, 16, v28
	v_mul_f16_sdwa v22, v28, v11 dst_sel:DWORD dst_unused:UNUSED_PAD src0_sel:DWORD src1_sel:WORD_1
	v_fma_f16 v4, v4, s12, v23
	v_fma_f16 v22, v15, v11, v22
	v_lshrrev_b32_e32 v23, 16, v26
	v_mul_f16_sdwa v15, v15, v11 dst_sel:DWORD dst_unused:UNUSED_PAD src0_sel:DWORD src1_sel:WORD_1
	v_add_f16_e32 v25, v23, v3
	v_sub_f16_e32 v32, v3, v22
	v_add_f16_e32 v3, v3, v22
	v_fma_f16 v15, v28, v11, -v15
	v_add_f16_e32 v25, v25, v22
	v_fma_f16 v3, v3, -0.5, v23
	v_add_f16_e32 v22, v26, v14
	v_add_f16_e32 v23, v14, v15
	v_pack_b32_f16 v4, v5, v4
	v_add_f16_e32 v22, v22, v15
	v_sub_f16_e32 v14, v14, v15
	ds_write_b32 v62, v4 offset:40
	v_mad_legacy_u16 v4, v33, 15, v35
	v_fma_f16 v15, v23, -0.5, v26
	v_pack_b32_f16 v5, v22, v25
	v_fma_f16 v22, v32, s12, v15
	v_fma_f16 v23, v14, s13, v3
	v_and_b32_e32 v4, 0xff, v4
	v_pack_b32_f16 v22, v22, v23
	v_lshl_add_u32 v63, v4, 2, v24
	ds_write2_b32 v63, v5, v22 offset1:5
	v_lshrrev_b32_e32 v4, 16, v29
	s_waitcnt vmcnt(1)
	v_mul_f16_sdwa v22, v29, v13 dst_sel:DWORD dst_unused:UNUSED_PAD src0_sel:DWORD src1_sel:WORD_1
	v_mul_f16_sdwa v5, v4, v13 dst_sel:DWORD dst_unused:UNUSED_PAD src0_sel:DWORD src1_sel:WORD_1
	v_fma_f16 v4, v4, v13, v22
	v_fma_f16 v3, v14, s12, v3
	v_lshrrev_b32_e32 v14, 16, v30
	v_mul_f16_sdwa v22, v30, v12 dst_sel:DWORD dst_unused:UNUSED_PAD src0_sel:DWORD src1_sel:WORD_1
	v_fma_f16 v22, v14, v12, v22
	v_mul_f16_sdwa v14, v14, v12 dst_sel:DWORD dst_unused:UNUSED_PAD src0_sel:DWORD src1_sel:WORD_1
	v_fma_f16 v5, v29, v13, -v5
	v_fma_f16 v14, v30, v12, -v14
	v_add_f16_e32 v23, v14, v5
	v_lshrrev_b32_e32 v25, 16, v27
	v_fma_f16 v15, v32, s13, v15
	v_fma_f16 v23, v23, -0.5, v27
	v_add_f16_e32 v26, v27, v14
	v_add_f16_e32 v27, v25, v22
	;; [unrolled: 1-line block ×3, first 2 shown]
	v_sub_f16_e32 v28, v22, v4
	v_add_f16_e32 v4, v22, v4
	v_pack_b32_f16 v3, v15, v3
	v_fma_f16 v4, v4, -0.5, v25
	v_add_f16_e32 v22, v26, v5
	v_sub_f16_e32 v5, v14, v5
	ds_write_b32 v63, v3 offset:40
	v_mad_legacy_u16 v3, v39, 15, v64
	v_pack_b32_f16 v14, v22, v27
	v_fma_f16 v15, v28, s12, v23
	v_fma_f16 v22, v5, s13, v4
	v_and_b32_e32 v3, 0xff, v3
	v_pack_b32_f16 v15, v15, v22
	v_lshl_add_u32 v64, v3, 2, v24
	ds_write2_b32 v64, v14, v15 offset1:5
	v_lshrrev_b32_e32 v3, 16, v31
	s_waitcnt vmcnt(0)
	v_mul_f16_sdwa v15, v31, v16 dst_sel:DWORD dst_unused:UNUSED_PAD src0_sel:DWORD src1_sel:WORD_1
	v_mul_f16_sdwa v14, v3, v16 dst_sel:DWORD dst_unused:UNUSED_PAD src0_sel:DWORD src1_sel:WORD_1
	v_fma_f16 v3, v3, v16, v15
	v_lshrrev_b32_e32 v15, 16, v69
	v_mul_f16_sdwa v22, v15, v17 dst_sel:DWORD dst_unused:UNUSED_PAD src0_sel:DWORD src1_sel:WORD_1
	v_fma_f16 v14, v31, v16, -v14
	v_fma_f16 v22, v69, v17, -v22
	v_mul_f16_sdwa v25, v69, v17 dst_sel:DWORD dst_unused:UNUSED_PAD src0_sel:DWORD src1_sel:WORD_1
	v_fma_f16 v15, v15, v17, v25
	v_fma_f16 v4, v5, s12, v4
	v_add_f16_e32 v5, v14, v22
	v_fma_f16 v23, v28, s13, v23
	v_fma_f16 v5, v5, -0.5, v2
	v_lshrrev_b32_e32 v25, 16, v2
	v_sub_f16_e32 v26, v3, v15
	v_fma_f16 v27, v26, s12, v5
	v_fma_f16 v5, v26, s13, v5
	v_add_f16_e32 v26, v25, v3
	v_add_f16_e32 v3, v3, v15
	v_pack_b32_f16 v4, v23, v4
	v_add_f16_e32 v2, v2, v14
	v_fma_f16 v3, v3, -0.5, v25
	v_sub_f16_e32 v14, v14, v22
	ds_write_b32 v64, v4 offset:40
	v_mad_legacy_u16 v4, v67, 15, v68
	v_add_f16_e32 v26, v26, v15
	v_add_f16_e32 v2, v2, v22
	v_fma_f16 v15, v14, s13, v3
	v_and_b32_e32 v4, 0xff, v4
	v_fma_f16 v3, v14, s12, v3
	v_lshl_add_u32 v65, v4, 2, v24
	v_pack_b32_f16 v2, v2, v26
	v_pack_b32_f16 v4, v27, v15
	ds_write2_b32 v65, v2, v4 offset1:5
	v_pack_b32_f16 v2, v5, v3
	v_lshlrev_b32_e32 v25, 3, v0
	ds_write_b32 v65, v2 offset:40
	s_waitcnt lgkmcnt(0)
	s_barrier
	global_load_dwordx2 v[14:15], v25, s[10:11] offset:40
	v_lshl_add_u64 v[2:3], v[0:1], 0, -6
	v_cndmask_b32_e32 v27, v3, v21, vcc
	v_cndmask_b32_e32 v26, v2, v20, vcc
	v_lshl_add_u64 v[2:3], v[26:27], 3, s[10:11]
	global_load_dwordx2 v[22:23], v[2:3], off offset:40
	v_mul_lo_u16_sdwa v1, v38, s20 dst_sel:DWORD dst_unused:UNUSED_PAD src0_sel:BYTE_0 src1_sel:DWORD
	v_lshrrev_b16_e32 v21, 11, v1
	v_mul_lo_u16_e32 v1, 15, v21
	v_sub_u16_e32 v27, v38, v1
	v_mov_b32_e32 v1, 3
	v_lshlrev_b32_sdwa v1, v1, v27 dst_sel:DWORD dst_unused:UNUSED_PAD src0_sel:DWORD src1_sel:BYTE_0
	global_load_dwordx2 v[30:31], v1, s[10:11] offset:40
	global_load_dwordx2 v[28:29], v25, s[10:11] offset:64
	v_mad_u64_u32 v[2:3], s[18:19], s6, v18, 0
	v_mul_lo_u16_sdwa v1, v36, s20 dst_sel:DWORD dst_unused:UNUSED_PAD src0_sel:BYTE_0 src1_sel:DWORD
	ds_read2_b32 v[66:67], v41 offset0:36 offset1:45
	ds_read2_b32 v[68:69], v41 offset0:90 offset1:99
	v_mov_b32_e32 v4, v3
	v_lshrrev_b16_e32 v1, 11, v1
	ds_read2_b32 v[70:71], v41 offset1:9
	v_mad_u64_u32 v[4:5], s[6:7], s7, v18, v[4:5]
	v_mul_lo_u16_e32 v1, 15, v1
	v_sub_u16_e32 v5, v36, v1
	v_lshlrev_b16_e32 v1, 3, v5
	v_and_b32_e32 v18, 0xf8, v1
	s_waitcnt lgkmcnt(2)
	v_lshrrev_b32_e32 v1, 16, v67
	s_waitcnt lgkmcnt(1)
	v_lshrrev_b32_e32 v32, 16, v68
	;; [unrolled: 2-line block ×3, first 2 shown]
	v_lshl_add_u64 v[18:19], s[10:11], 0, v[18:19]
	v_cmp_lt_u16_e32 vcc, 5, v0
	v_and_b32_e32 v5, 0xff, v5
	v_lshl_add_u32 v5, v5, 2, v24
	s_movk_i32 s6, 0x1ff
	s_movk_i32 s7, 0xffe
	s_waitcnt vmcnt(3)
	v_mul_f16_sdwa v3, v67, v14 dst_sel:DWORD dst_unused:UNUSED_PAD src0_sel:DWORD src1_sel:WORD_1
	v_mul_f16_sdwa v33, v68, v15 dst_sel:DWORD dst_unused:UNUSED_PAD src0_sel:DWORD src1_sel:WORD_1
	v_fma_f16 v3, v1, v14, v3
	v_fma_f16 v33, v32, v15, v33
	v_mul_f16_sdwa v1, v1, v14 dst_sel:DWORD dst_unused:UNUSED_PAD src0_sel:DWORD src1_sel:WORD_1
	v_mul_f16_sdwa v32, v32, v15 dst_sel:DWORD dst_unused:UNUSED_PAD src0_sel:DWORD src1_sel:WORD_1
	v_add_f16_e32 v39, v35, v3
	v_sub_f16_e32 v78, v3, v33
	v_add_f16_e32 v3, v3, v33
	v_fma_f16 v1, v67, v14, -v1
	v_fma_f16 v32, v68, v15, -v32
	v_add_f16_e32 v39, v39, v33
	v_fma_f16 v3, v3, -0.5, v35
	v_add_f16_e32 v33, v70, v1
	v_add_f16_e32 v35, v1, v32
	;; [unrolled: 1-line block ×3, first 2 shown]
	v_sub_f16_e32 v1, v1, v32
	v_fma_f16 v35, v35, -0.5, v70
	v_pack_b32_f16 v39, v33, v39
	v_fma_f16 v32, v78, s12, v35
	v_fma_f16 v33, v1, s13, v3
	v_pack_b32_f16 v67, v32, v33
	global_load_dwordx2 v[32:33], v[18:19], off offset:40
	ds_read_b32 v68, v41 offset:504
	ds_read2_b32 v[18:19], v41 offset0:54 offset1:63
	ds_read2_b32 v[72:73], v41 offset0:18 offset1:27
	;; [unrolled: 1-line block ×4, first 2 shown]
	s_waitcnt lgkmcnt(0)
	s_barrier
	ds_write2_b32 v41, v39, v67 offset1:15
	v_cndmask_b32_e64 v39, 0, 45, vcc
	v_add_u32_e32 v26, v26, v39
	v_lshrrev_b32_e32 v39, 16, v69
	s_waitcnt vmcnt(3)
	v_mul_f16_sdwa v67, v39, v23 dst_sel:DWORD dst_unused:UNUSED_PAD src0_sel:DWORD src1_sel:WORD_1
	v_fma_f16 v67, v69, v23, -v67
	v_mul_f16_sdwa v69, v69, v23 dst_sel:DWORD dst_unused:UNUSED_PAD src0_sel:DWORD src1_sel:WORD_1
	v_fma_f16 v39, v39, v23, v69
	v_fma_f16 v1, v1, s12, v3
	v_lshrrev_b32_e32 v3, 16, v18
	v_mul_f16_sdwa v69, v18, v22 dst_sel:DWORD dst_unused:UNUSED_PAD src0_sel:DWORD src1_sel:WORD_1
	v_fma_f16 v69, v3, v22, v69
	v_mul_f16_sdwa v3, v3, v22 dst_sel:DWORD dst_unused:UNUSED_PAD src0_sel:DWORD src1_sel:WORD_1
	v_lshrrev_b32_e32 v70, 16, v71
	v_fma_f16 v35, v78, s13, v35
	v_fma_f16 v3, v18, v22, -v3
	v_add_f16_e32 v78, v70, v69
	v_add_f16_e32 v18, v3, v67
	;; [unrolled: 1-line block ×3, first 2 shown]
	v_sub_f16_e32 v79, v69, v39
	v_add_f16_e32 v39, v69, v39
	v_fma_f16 v18, v18, -0.5, v71
	v_add_f16_e32 v71, v71, v3
	v_fma_f16 v39, v39, -0.5, v70
	v_sub_f16_e32 v3, v3, v67
	v_pack_b32_f16 v1, v35, v1
	v_add_f16_e32 v69, v71, v67
	ds_write_b32 v41, v1 offset:120
	v_fma_f16 v1, v79, s12, v18
	v_fma_f16 v67, v3, s13, v39
	v_pack_b32_f16 v35, v69, v78
	v_pack_b32_f16 v67, v1, v67
	v_lshl_add_u32 v1, v26, 2, v24
	v_lshrrev_b32_e32 v26, 16, v19
	ds_write2_b32 v1, v35, v67 offset1:15
	s_waitcnt vmcnt(1)
	v_mul_f16_sdwa v35, v26, v28 dst_sel:DWORD dst_unused:UNUSED_PAD src0_sel:DWORD src1_sel:WORD_1
	v_fma_f16 v35, v19, v28, -v35
	v_mul_f16_sdwa v19, v19, v28 dst_sel:DWORD dst_unused:UNUSED_PAD src0_sel:DWORD src1_sel:WORD_1
	v_fma_f16 v19, v26, v28, v19
	v_fma_f16 v3, v3, s12, v39
	v_lshrrev_b32_e32 v26, 16, v74
	v_mul_f16_sdwa v39, v74, v29 dst_sel:DWORD dst_unused:UNUSED_PAD src0_sel:DWORD src1_sel:WORD_1
	v_fma_f16 v39, v26, v29, v39
	v_lshrrev_b32_e32 v67, 16, v72
	v_mul_f16_sdwa v26, v26, v29 dst_sel:DWORD dst_unused:UNUSED_PAD src0_sel:DWORD src1_sel:WORD_1
	v_add_f16_e32 v69, v67, v19
	v_sub_f16_e32 v70, v19, v39
	v_add_f16_e32 v19, v19, v39
	v_fma_f16 v26, v74, v29, -v26
	v_fma_f16 v18, v79, s13, v18
	v_add_f16_e32 v69, v69, v39
	v_fma_f16 v19, v19, -0.5, v67
	v_add_f16_e32 v39, v72, v35
	v_add_f16_e32 v67, v35, v26
	;; [unrolled: 1-line block ×3, first 2 shown]
	v_sub_f16_e32 v26, v35, v26
	v_pack_b32_f16 v3, v18, v3
	v_fma_f16 v18, v67, -0.5, v72
	ds_write_b32 v1, v3 offset:120
	v_pack_b32_f16 v3, v39, v69
	v_fma_f16 v35, v70, s12, v18
	v_fma_f16 v39, v26, s13, v19
	v_pack_b32_f16 v35, v35, v39
	ds_write2_b32 v41, v3, v35 offset0:48 offset1:63
	v_lshrrev_b32_e32 v3, 16, v75
	v_mul_f16_sdwa v39, v75, v31 dst_sel:DWORD dst_unused:UNUSED_PAD src0_sel:DWORD src1_sel:WORD_1
	v_mul_f16_sdwa v35, v3, v31 dst_sel:DWORD dst_unused:UNUSED_PAD src0_sel:DWORD src1_sel:WORD_1
	v_fma_f16 v3, v3, v31, v39
	v_fma_f16 v19, v26, s12, v19
	v_lshrrev_b32_e32 v26, 16, v76
	v_mul_f16_sdwa v39, v76, v30 dst_sel:DWORD dst_unused:UNUSED_PAD src0_sel:DWORD src1_sel:WORD_1
	v_fma_f16 v39, v26, v30, v39
	v_mul_f16_sdwa v26, v26, v30 dst_sel:DWORD dst_unused:UNUSED_PAD src0_sel:DWORD src1_sel:WORD_1
	v_lshrrev_b32_e32 v69, 16, v73
	v_fma_f16 v35, v75, v31, -v35
	v_fma_f16 v18, v70, s13, v18
	v_fma_f16 v26, v76, v30, -v26
	v_add_f16_e32 v71, v69, v39
	v_add_f16_e32 v67, v26, v35
	;; [unrolled: 1-line block ×4, first 2 shown]
	v_sub_f16_e32 v72, v39, v3
	v_add_f16_e32 v3, v39, v3
	v_pack_b32_f16 v18, v18, v19
	v_fma_f16 v67, v67, -0.5, v73
	v_fma_f16 v39, v3, -0.5, v69
	v_add_f16_e32 v3, v70, v35
	v_sub_f16_e32 v26, v26, v35
	ds_write_b32 v41, v18 offset:312
	v_mul_u32_u24_e32 v18, 45, v21
	v_add_u32_sdwa v18, v18, v27 dst_sel:DWORD dst_unused:UNUSED_PAD src0_sel:DWORD src1_sel:BYTE_0
	v_pack_b32_f16 v19, v3, v71
	v_fma_f16 v3, v72, s12, v67
	v_fma_f16 v21, v26, s13, v39
	v_pack_b32_f16 v21, v3, v21
	v_lshl_add_u32 v3, v18, 2, v24
	ds_write2_b32 v3, v19, v21 offset1:15
	v_lshrrev_b32_e32 v18, 16, v77
	s_waitcnt vmcnt(0)
	v_mul_f16_sdwa v21, v77, v32 dst_sel:DWORD dst_unused:UNUSED_PAD src0_sel:DWORD src1_sel:WORD_1
	v_mul_f16_sdwa v19, v18, v32 dst_sel:DWORD dst_unused:UNUSED_PAD src0_sel:DWORD src1_sel:WORD_1
	v_fma_f16 v18, v18, v32, v21
	v_lshrrev_b32_e32 v21, 16, v68
	v_mul_f16_sdwa v27, v21, v33 dst_sel:DWORD dst_unused:UNUSED_PAD src0_sel:DWORD src1_sel:WORD_1
	v_mul_f16_sdwa v35, v68, v33 dst_sel:DWORD dst_unused:UNUSED_PAD src0_sel:DWORD src1_sel:WORD_1
	v_fma_f16 v19, v77, v32, -v19
	v_fma_f16 v27, v68, v33, -v27
	v_fma_f16 v21, v21, v33, v35
	v_fma_f16 v35, v72, s13, v67
	v_lshrrev_b32_e32 v67, 16, v66
	v_fma_f16 v26, v26, s12, v39
	v_add_f16_e32 v39, v19, v27
	v_add_f16_e32 v68, v67, v18
	v_sub_f16_e32 v69, v18, v21
	v_add_f16_e32 v18, v18, v21
	v_fma_f16 v39, v39, -0.5, v66
	v_add_f16_e32 v66, v66, v19
	v_fma_f16 v18, v18, -0.5, v67
	v_sub_f16_e32 v19, v19, v27
	v_pack_b32_f16 v26, v35, v26
	v_add_f16_e32 v68, v68, v21
	v_add_f16_e32 v21, v66, v27
	ds_write_b32 v3, v26 offset:120
	v_fma_f16 v24, v69, s12, v39
	v_fma_f16 v26, v19, s13, v18
	v_pack_b32_f16 v21, v21, v68
	v_pack_b32_f16 v24, v24, v26
	ds_write2_b32 v5, v21, v24 offset0:90 offset1:105
	v_fma_f16 v21, v69, s13, v39
	v_fma_f16 v18, v19, s12, v18
	v_pack_b32_f16 v18, v21, v18
	ds_write_b32 v5, v18 offset:480
	s_waitcnt lgkmcnt(0)
	s_barrier
	global_load_dwordx2 v[26:27], v25, s[10:11] offset:160
	v_lshlrev_b32_e32 v18, 3, v20
	global_load_dwordx2 v[24:25], v18, s[10:11] offset:160
	v_lshlrev_b32_e32 v18, 3, v34
	ds_read2_b32 v[34:35], v41 offset0:90 offset1:99
	global_load_dwordx2 v[20:21], v18, s[10:11] offset:160
	v_lshlrev_b32_e32 v18, 3, v38
	global_load_dwordx2 v[18:19], v18, s[10:11] offset:160
	s_waitcnt lgkmcnt(0)
	v_lshrrev_b32_e32 v38, 16, v34
	s_waitcnt vmcnt(3)
	v_mul_f16_sdwa v39, v34, v27 dst_sel:DWORD dst_unused:UNUSED_PAD src0_sel:DWORD src1_sel:WORD_1
	v_fma_f16 v66, v38, v27, v39
	v_mul_f16_sdwa v38, v38, v27 dst_sel:DWORD dst_unused:UNUSED_PAD src0_sel:DWORD src1_sel:WORD_1
	v_fma_f16 v68, v34, v27, -v38
	ds_read2_b32 v[38:39], v41 offset0:36 offset1:45
	v_lshrrev_b32_e32 v34, 16, v35
	s_waitcnt vmcnt(2)
	v_mul_f16_sdwa v67, v34, v25 dst_sel:DWORD dst_unused:UNUSED_PAD src0_sel:DWORD src1_sel:WORD_1
	v_fma_f16 v74, v35, v25, -v67
	v_mul_f16_sdwa v35, v35, v25 dst_sel:DWORD dst_unused:UNUSED_PAD src0_sel:DWORD src1_sel:WORD_1
	v_fma_f16 v75, v34, v25, v35
	ds_read2_b32 v[34:35], v41 offset1:9
	s_waitcnt lgkmcnt(1)
	v_lshrrev_b32_e32 v67, 16, v39
	v_mul_f16_sdwa v69, v39, v26 dst_sel:DWORD dst_unused:UNUSED_PAD src0_sel:DWORD src1_sel:WORD_1
	v_fma_f16 v69, v67, v26, v69
	v_mul_f16_sdwa v67, v67, v26 dst_sel:DWORD dst_unused:UNUSED_PAD src0_sel:DWORD src1_sel:WORD_1
	v_fma_f16 v39, v39, v26, -v67
	v_add_f16_e32 v67, v39, v68
	s_waitcnt lgkmcnt(0)
	v_fma_f16 v67, v67, -0.5, v34
	v_sub_f16_e32 v70, v69, v66
	v_fma_f16 v71, v70, s12, v67
	v_fma_f16 v76, v70, s13, v67
	v_lshrrev_b32_e32 v67, 16, v34
	v_add_f16_e32 v70, v67, v69
	v_add_f16_e32 v70, v70, v66
	;; [unrolled: 1-line block ×3, first 2 shown]
	v_fma_f16 v69, v66, -0.5, v67
	ds_read2_b32 v[66:67], v41 offset0:54 offset1:63
	v_add_f16_e32 v34, v34, v39
	v_sub_f16_e32 v39, v39, v68
	v_add_f16_e32 v34, v34, v68
	v_fma_f16 v68, v39, s13, v69
	v_fma_f16 v39, v39, s12, v69
	s_waitcnt lgkmcnt(0)
	v_lshrrev_b32_e32 v69, 16, v66
	v_mul_f16_sdwa v72, v66, v24 dst_sel:DWORD dst_unused:UNUSED_PAD src0_sel:DWORD src1_sel:WORD_1
	v_fma_f16 v77, v69, v24, v72
	v_mul_f16_sdwa v69, v69, v24 dst_sel:DWORD dst_unused:UNUSED_PAD src0_sel:DWORD src1_sel:WORD_1
	v_fma_f16 v66, v66, v24, -v69
	v_add_f16_e32 v69, v66, v74
	v_pack_b32_f16 v81, v34, v70
	v_lshlrev_b32_e32 v34, 3, v36
	v_fma_f16 v78, v69, -0.5, v35
	v_lshrrev_b32_e32 v79, 16, v35
	v_add_f16_e32 v80, v35, v66
	global_load_dwordx2 v[34:35], v34, s[10:11] offset:160
	v_pack_b32_f16 v36, v76, v39
	v_add_f16_e32 v39, v79, v77
	v_pack_b32_f16 v82, v71, v68
	ds_read2_b32 v[68:69], v41 offset0:18 offset1:27
	ds_read2_b32 v[70:71], v41 offset0:108 offset1:117
	;; [unrolled: 1-line block ×3, first 2 shown]
	ds_write_b32 v41, v36 offset:360
	v_add_f16_e32 v36, v80, v74
	v_add_f16_e32 v39, v39, v75
	v_pack_b32_f16 v36, v36, v39
	ds_write_b32 v41, v82 offset:180
	ds_read_b32 v39, v41 offset:504
	ds_write2_b32 v41, v81, v36 offset1:9
	v_lshrrev_b32_e32 v36, 16, v67
	s_waitcnt vmcnt(2)
	v_mul_f16_sdwa v76, v36, v20 dst_sel:DWORD dst_unused:UNUSED_PAD src0_sel:DWORD src1_sel:WORD_1
	v_fma_f16 v76, v67, v20, -v76
	v_mul_f16_sdwa v67, v67, v20 dst_sel:DWORD dst_unused:UNUSED_PAD src0_sel:DWORD src1_sel:WORD_1
	v_fma_f16 v36, v36, v20, v67
	v_sub_f16_e32 v67, v77, v75
	v_add_f16_e32 v75, v77, v75
	v_fma_f16 v75, v75, -0.5, v79
	v_sub_f16_e32 v66, v66, v74
	v_fma_f16 v80, v67, s12, v78
	v_fma_f16 v67, v67, s13, v78
	;; [unrolled: 1-line block ×4, first 2 shown]
	v_pack_b32_f16 v66, v67, v66
	ds_write_b32 v41, v66 offset:396
	s_waitcnt lgkmcnt(6)
	v_lshrrev_b32_e32 v66, 16, v70
	v_mul_f16_sdwa v67, v70, v21 dst_sel:DWORD dst_unused:UNUSED_PAD src0_sel:DWORD src1_sel:WORD_1
	v_fma_f16 v67, v66, v21, v67
	v_mul_f16_sdwa v66, v66, v21 dst_sel:DWORD dst_unused:UNUSED_PAD src0_sel:DWORD src1_sel:WORD_1
	v_fma_f16 v66, v70, v21, -v66
	v_add_f16_e32 v70, v76, v66
	v_lshrrev_b32_e32 v75, 16, v68
	v_add_f16_e32 v77, v36, v67
	v_pack_b32_f16 v74, v80, v74
	v_fma_f16 v70, v70, -0.5, v68
	v_fma_f16 v77, v77, -0.5, v75
	v_sub_f16_e32 v78, v36, v67
	v_sub_f16_e32 v80, v76, v66
	v_fma_f16 v79, v78, s12, v70
	v_fma_f16 v81, v80, s13, v77
	v_pack_b32_f16 v79, v79, v81
	v_add_f16_e32 v68, v68, v76
	v_add_f16_e32 v36, v75, v36
	ds_write2_b32 v41, v74, v79 offset0:54 offset1:63
	v_lshrrev_b32_e32 v74, 16, v71
	v_add_f16_e32 v66, v68, v66
	v_add_f16_e32 v36, v36, v67
	s_waitcnt lgkmcnt(6)
	v_lshrrev_b32_e32 v67, 16, v72
	s_waitcnt vmcnt(1)
	v_mul_f16_sdwa v68, v72, v18 dst_sel:DWORD dst_unused:UNUSED_PAD src0_sel:DWORD src1_sel:WORD_1
	v_mul_f16_sdwa v79, v74, v19 dst_sel:DWORD dst_unused:UNUSED_PAD src0_sel:DWORD src1_sel:WORD_1
	v_fma_f16 v68, v67, v18, v68
	v_mul_f16_sdwa v67, v67, v18 dst_sel:DWORD dst_unused:UNUSED_PAD src0_sel:DWORD src1_sel:WORD_1
	v_fma_f16 v79, v71, v19, -v79
	v_fma_f16 v67, v72, v18, -v67
	v_mul_f16_sdwa v71, v71, v19 dst_sel:DWORD dst_unused:UNUSED_PAD src0_sel:DWORD src1_sel:WORD_1
	v_add_f16_e32 v72, v67, v79
	v_fma_f16 v71, v74, v19, v71
	v_fma_f16 v72, v72, -0.5, v69
	v_lshrrev_b32_e32 v74, 16, v69
	v_add_f16_e32 v69, v69, v67
	v_pack_b32_f16 v36, v66, v36
	v_add_f16_e32 v66, v69, v79
	v_add_f16_e32 v69, v74, v68
	;; [unrolled: 1-line block ×3, first 2 shown]
	v_pack_b32_f16 v66, v66, v69
	v_sub_f16_e32 v69, v68, v71
	v_add_f16_e32 v68, v68, v71
	ds_write2_b32 v41, v36, v66 offset0:18 offset1:27
	v_fma_f16 v36, v78, s13, v70
	v_fma_f16 v66, v80, s12, v77
	v_fma_f16 v68, v68, -0.5, v74
	v_sub_f16_e32 v67, v67, v79
	v_pack_b32_f16 v36, v36, v66
	v_fma_f16 v66, v69, s13, v72
	v_fma_f16 v70, v67, s12, v68
	v_pack_b32_f16 v66, v66, v70
	ds_write2_b32 v41, v36, v66 offset0:108 offset1:117
	v_lshrrev_b32_e32 v36, 16, v73
	s_waitcnt vmcnt(0)
	v_mul_f16_sdwa v70, v73, v34 dst_sel:DWORD dst_unused:UNUSED_PAD src0_sel:DWORD src1_sel:WORD_1
	v_mul_f16_sdwa v66, v36, v34 dst_sel:DWORD dst_unused:UNUSED_PAD src0_sel:DWORD src1_sel:WORD_1
	v_fma_f16 v36, v36, v34, v70
	s_waitcnt lgkmcnt(5)
	v_lshrrev_b32_e32 v70, 16, v39
	v_mul_f16_sdwa v71, v70, v35 dst_sel:DWORD dst_unused:UNUSED_PAD src0_sel:DWORD src1_sel:WORD_1
	v_fma_f16 v71, v39, v35, -v71
	v_mul_f16_sdwa v39, v39, v35 dst_sel:DWORD dst_unused:UNUSED_PAD src0_sel:DWORD src1_sel:WORD_1
	v_fma_f16 v66, v73, v34, -v66
	v_fma_f16 v39, v70, v35, v39
	v_fma_f16 v69, v69, s12, v72
	;; [unrolled: 1-line block ×3, first 2 shown]
	v_add_f16_e32 v68, v66, v71
	v_lshrrev_b32_e32 v70, 16, v38
	v_pack_b32_f16 v67, v69, v67
	v_add_f16_e32 v69, v36, v39
	v_fma_f16 v68, v68, -0.5, v38
	v_add_f16_e32 v38, v38, v66
	v_fma_f16 v69, v69, -0.5, v70
	v_sub_f16_e32 v66, v66, v71
	v_sub_f16_e32 v72, v36, v39
	v_fma_f16 v73, v72, s12, v68
	v_fma_f16 v74, v66, s13, v69
	v_add_f16_e32 v36, v70, v36
	v_pack_b32_f16 v73, v73, v74
	v_add_f16_e32 v38, v38, v71
	v_add_f16_e32 v36, v36, v39
	ds_write2_b32 v41, v67, v73 offset0:72 offset1:81
	v_fma_f16 v67, v72, s13, v68
	v_fma_f16 v39, v66, s12, v69
	v_pack_b32_f16 v36, v38, v36
	ds_write_b32 v41, v36 offset:144
	v_pack_b32_f16 v36, v67, v39
	ds_write_b32 v41, v36 offset:504
	s_waitcnt lgkmcnt(0)
	s_barrier
	global_load_dword v36, v58, s[8:9] offset:540
	global_load_dword v66, v58, s[2:3] offset:36
	;; [unrolled: 1-line block ×12, first 2 shown]
	ds_read2_b32 v[38:39], v41 offset1:9
	global_load_dword v77, v58, s[2:3] offset:504
	global_load_dword v80, v58, s[2:3] offset:396
	;; [unrolled: 1-line block ×3, first 2 shown]
	s_mov_b32 s2, 0xc901e574
	s_mov_b32 s3, 0x3f7e573a
	s_waitcnt lgkmcnt(0)
	v_lshrrev_b32_e32 v78, 16, v38
	s_movk_i32 s8, 0x40f
	s_mov_b32 s9, 0x8000
	s_mul_i32 s10, s5, 0x6c
	s_waitcnt vmcnt(14)
	v_mul_f16_sdwa v79, v38, v36 dst_sel:DWORD dst_unused:UNUSED_PAD src0_sel:DWORD src1_sel:WORD_1
	v_fma_f16 v79, v78, v36, v79
	v_mul_f16_sdwa v78, v78, v36 dst_sel:DWORD dst_unused:UNUSED_PAD src0_sel:DWORD src1_sel:WORD_1
	v_fma_f16 v36, v38, v36, -v78
	v_lshrrev_b32_e32 v78, 16, v39
	s_waitcnt vmcnt(13)
	v_mul_f16_sdwa v38, v78, v66 dst_sel:DWORD dst_unused:UNUSED_PAD src0_sel:DWORD src1_sel:WORD_1
	v_fma_f16 v58, v39, v66, -v38
	v_mul_f16_sdwa v82, v39, v66 dst_sel:DWORD dst_unused:UNUSED_PAD src0_sel:DWORD src1_sel:WORD_1
	ds_read2_b32 v[38:39], v41 offset0:54 offset1:63
	v_fma_f16 v66, v78, v66, v82
	v_pack_b32_f16 v36, v36, v79
	v_pack_b32_f16 v58, v58, v66
	ds_write2_b32 v41, v36, v58 offset1:9
	s_waitcnt lgkmcnt(1)
	v_lshrrev_b32_e32 v36, 16, v38
	s_waitcnt vmcnt(11)
	v_mul_f16_sdwa v58, v38, v68 dst_sel:DWORD dst_unused:UNUSED_PAD src0_sel:DWORD src1_sel:WORD_1
	v_fma_f16 v58, v36, v68, v58
	v_mul_f16_sdwa v36, v36, v68 dst_sel:DWORD dst_unused:UNUSED_PAD src0_sel:DWORD src1_sel:WORD_1
	v_lshrrev_b32_e32 v66, 16, v39
	v_fma_f16 v36, v38, v68, -v36
	s_waitcnt vmcnt(10)
	v_mul_f16_sdwa v38, v66, v69 dst_sel:DWORD dst_unused:UNUSED_PAD src0_sel:DWORD src1_sel:WORD_1
	v_fma_f16 v68, v39, v69, -v38
	v_mul_f16_sdwa v78, v39, v69 dst_sel:DWORD dst_unused:UNUSED_PAD src0_sel:DWORD src1_sel:WORD_1
	ds_read2_b32 v[38:39], v41 offset0:108 offset1:117
	v_fma_f16 v66, v66, v69, v78
	v_pack_b32_f16 v36, v36, v58
	v_pack_b32_f16 v58, v68, v66
	ds_write2_b32 v41, v36, v58 offset0:54 offset1:63
	s_waitcnt lgkmcnt(1)
	v_lshrrev_b32_e32 v36, 16, v38
	s_waitcnt vmcnt(9)
	v_mul_f16_sdwa v58, v38, v70 dst_sel:DWORD dst_unused:UNUSED_PAD src0_sel:DWORD src1_sel:WORD_1
	v_fma_f16 v58, v36, v70, v58
	v_mul_f16_sdwa v36, v36, v70 dst_sel:DWORD dst_unused:UNUSED_PAD src0_sel:DWORD src1_sel:WORD_1
	v_lshrrev_b32_e32 v66, 16, v39
	v_fma_f16 v36, v38, v70, -v36
	s_waitcnt vmcnt(8)
	v_mul_f16_sdwa v38, v66, v71 dst_sel:DWORD dst_unused:UNUSED_PAD src0_sel:DWORD src1_sel:WORD_1
	v_fma_f16 v68, v39, v71, -v38
	v_mul_f16_sdwa v69, v39, v71 dst_sel:DWORD dst_unused:UNUSED_PAD src0_sel:DWORD src1_sel:WORD_1
	ds_read2_b32 v[38:39], v41 offset0:18 offset1:27
	v_fma_f16 v66, v66, v71, v69
	v_pack_b32_f16 v36, v36, v58
	v_pack_b32_f16 v58, v68, v66
	ds_write2_b32 v41, v36, v58 offset0:108 offset1:117
	;; [unrolled: 17-line block ×3, first 2 shown]
	s_waitcnt lgkmcnt(1)
	v_lshrrev_b32_e32 v36, 16, v38
	s_waitcnt vmcnt(4)
	v_mul_f16_sdwa v58, v38, v75 dst_sel:DWORD dst_unused:UNUSED_PAD src0_sel:DWORD src1_sel:WORD_1
	v_fma_f16 v58, v36, v75, v58
	v_mul_f16_sdwa v36, v36, v75 dst_sel:DWORD dst_unused:UNUSED_PAD src0_sel:DWORD src1_sel:WORD_1
	v_lshrrev_b32_e32 v66, 16, v39
	v_fma_f16 v36, v38, v75, -v36
	v_mul_f16_sdwa v38, v66, v72 dst_sel:DWORD dst_unused:UNUSED_PAD src0_sel:DWORD src1_sel:WORD_1
	v_fma_f16 v68, v39, v72, -v38
	v_mul_f16_sdwa v69, v39, v72 dst_sel:DWORD dst_unused:UNUSED_PAD src0_sel:DWORD src1_sel:WORD_1
	ds_read2_b32 v[38:39], v41 offset0:72 offset1:81
	v_fma_f16 v66, v66, v72, v69
	v_pack_b32_f16 v36, v36, v58
	v_pack_b32_f16 v58, v68, v66
	ds_write2_b32 v41, v36, v58 offset0:36 offset1:45
	s_waitcnt lgkmcnt(1)
	v_lshrrev_b32_e32 v36, 16, v39
	s_waitcnt vmcnt(3)
	v_mul_f16_sdwa v58, v39, v76 dst_sel:DWORD dst_unused:UNUSED_PAD src0_sel:DWORD src1_sel:WORD_1
	v_fma_f16 v58, v36, v76, v58
	v_mul_f16_sdwa v36, v36, v76 dst_sel:DWORD dst_unused:UNUSED_PAD src0_sel:DWORD src1_sel:WORD_1
	v_lshrrev_b32_e32 v66, 16, v38
	v_fma_f16 v36, v39, v76, -v36
	v_mul_f16_sdwa v39, v66, v67 dst_sel:DWORD dst_unused:UNUSED_PAD src0_sel:DWORD src1_sel:WORD_1
	v_fma_f16 v68, v38, v67, -v39
	v_mul_f16_sdwa v69, v38, v67 dst_sel:DWORD dst_unused:UNUSED_PAD src0_sel:DWORD src1_sel:WORD_1
	ds_read2_b32 v[38:39], v41 offset0:90 offset1:99
	v_fma_f16 v66, v66, v67, v69
	v_pack_b32_f16 v36, v36, v58
	v_pack_b32_f16 v58, v68, v66
	ds_write2_b32 v41, v58, v36 offset0:72 offset1:81
	s_waitcnt lgkmcnt(1)
	v_lshrrev_b32_e32 v36, 16, v38
	s_waitcnt vmcnt(0)
	v_mul_f16_sdwa v58, v38, v81 dst_sel:DWORD dst_unused:UNUSED_PAD src0_sel:DWORD src1_sel:WORD_1
	v_fma_f16 v58, v36, v81, v58
	v_mul_f16_sdwa v36, v36, v81 dst_sel:DWORD dst_unused:UNUSED_PAD src0_sel:DWORD src1_sel:WORD_1
	v_fma_f16 v36, v38, v81, -v36
	v_lshrrev_b32_e32 v38, 16, v39
	ds_read_b32 v67, v41 offset:504
	v_mul_f16_sdwa v66, v38, v80 dst_sel:DWORD dst_unused:UNUSED_PAD src0_sel:DWORD src1_sel:WORD_1
	v_fma_f16 v66, v39, v80, -v66
	v_mul_f16_sdwa v39, v39, v80 dst_sel:DWORD dst_unused:UNUSED_PAD src0_sel:DWORD src1_sel:WORD_1
	v_fma_f16 v38, v38, v80, v39
	v_pack_b32_f16 v36, v36, v58
	v_pack_b32_f16 v38, v66, v38
	ds_write2_b32 v41, v36, v38 offset0:90 offset1:99
	s_waitcnt lgkmcnt(1)
	v_lshrrev_b32_e32 v36, 16, v67
	v_mul_f16_sdwa v38, v36, v77 dst_sel:DWORD dst_unused:UNUSED_PAD src0_sel:DWORD src1_sel:WORD_1
	v_mul_f16_sdwa v39, v67, v77 dst_sel:DWORD dst_unused:UNUSED_PAD src0_sel:DWORD src1_sel:WORD_1
	v_fma_f16 v38, v67, v77, -v38
	v_fma_f16 v36, v36, v77, v39
	v_pack_b32_f16 v36, v38, v36
	ds_write_b32 v41, v36 offset:504
	s_waitcnt lgkmcnt(0)
	s_barrier
	ds_read2_b32 v[38:39], v41 offset0:54 offset1:63
	ds_read2_b32 v[66:67], v41 offset0:18 offset1:27
	;; [unrolled: 1-line block ×4, first 2 shown]
	ds_read2_b32 v[72:73], v41 offset1:9
	s_waitcnt lgkmcnt(3)
	v_pk_add_f16 v36, v67, v38 neg_lo:[0,1] neg_hi:[0,1]
	s_waitcnt lgkmcnt(2)
	v_pk_add_f16 v78, v67, v68 neg_lo:[0,1] neg_hi:[0,1]
	;; [unrolled: 2-line block ×3, first 2 shown]
	v_pk_mul_f16 v74, v78, s15 op_sel_hi:[1,0]
	v_pk_add_f16 v36, v36, v58
	v_pk_add_f16 v58, v38, v71
	v_pk_add_f16 v79, v38, v71 neg_lo:[0,1] neg_hi:[0,1]
	s_waitcnt lgkmcnt(0)
	v_pk_fma_f16 v58, v58, 0.5, v72 op_sel_hi:[1,0,1] neg_lo:[1,0,0] neg_hi:[1,0,0]
	s_nop 0
	v_pk_add_f16 v75, v58, v74 op_sel:[0,1] op_sel_hi:[1,0]
	v_pk_add_f16 v58, v58, v74 op_sel:[0,1] op_sel_hi:[1,0] neg_lo:[0,1] neg_hi:[0,1]
	v_pk_mul_f16 v74, v79, s16 op_sel_hi:[1,0]
	s_nop 0
	v_pk_add_f16 v80, v75, v74 op_sel:[0,1] op_sel_hi:[1,0]
	v_pk_add_f16 v58, v58, v74 op_sel:[0,1] op_sel_hi:[1,0] neg_lo:[0,1] neg_hi:[0,1]
	v_pk_add_f16 v74, v72, v67
	v_bfi_b32 v83, s14, v58, v80
	v_pk_add_f16 v74, v74, v38
	v_pk_add_f16 v38, v38, v67 neg_lo:[0,1] neg_hi:[0,1]
	v_pk_add_f16 v74, v74, v71
	v_pk_add_f16 v67, v67, v68
	;; [unrolled: 1-line block ×3, first 2 shown]
	v_pk_add_f16 v71, v71, v68 neg_lo:[0,1] neg_hi:[0,1]
	v_pk_fma_f16 v67, v67, 0.5, v72 op_sel_hi:[1,0,1] neg_lo:[1,0,0] neg_hi:[1,0,0]
	v_pk_mul_f16 v68, v79, s15 op_sel_hi:[1,0]
	v_pk_add_f16 v38, v38, v71
	v_pk_add_f16 v71, v67, v68 op_sel:[0,1] op_sel_hi:[1,0] neg_lo:[0,1] neg_hi:[0,1]
	v_pk_add_f16 v67, v67, v68 op_sel:[0,1] op_sel_hi:[1,0]
	v_pk_mul_f16 v68, v78, s16 op_sel_hi:[1,0]
	ds_read_b32 v82, v41 offset:504
	ds_read2_b32 v[74:75], v41 offset0:36 offset1:45
	ds_read2_b32 v[76:77], v41 offset0:90 offset1:99
	v_pk_add_f16 v67, v67, v68 op_sel:[0,1] op_sel_hi:[1,0] neg_lo:[0,1] neg_hi:[0,1]
	v_pk_add_f16 v68, v71, v68 op_sel:[0,1] op_sel_hi:[1,0]
	v_bfi_b32 v58, s14, v80, v58
	v_pk_fma_f16 v83, v36, s17, v83 op_sel_hi:[1,0,1]
	v_pk_fma_f16 v36, v36, s17, v58 op_sel_hi:[1,0,1]
	v_bfi_b32 v58, s14, v68, v67
	v_pk_fma_f16 v58, v38, s17, v58 op_sel_hi:[1,0,1]
	s_waitcnt lgkmcnt(0)
	s_barrier
	ds_write2_b32 v61, v58, v36 offset0:3 offset1:4
	v_bfi_b32 v36, s14, v67, v68
	v_pk_fma_f16 v36, v38, s17, v36 op_sel_hi:[1,0,1]
	ds_write_b32 v61, v36 offset:8
	v_pk_add_f16 v36, v74, v39 neg_lo:[0,1] neg_hi:[0,1]
	v_pk_add_f16 v38, v69, v76 neg_lo:[0,1] neg_hi:[0,1]
	;; [unrolled: 1-line block ×3, first 2 shown]
	v_pk_add_f16 v36, v36, v38
	v_pk_add_f16 v38, v39, v76
	v_pk_mul_f16 v68, v67, s15 op_sel_hi:[1,0]
	v_pk_fma_f16 v38, v38, 0.5, v73 op_sel_hi:[1,0,1] neg_lo:[1,0,0] neg_hi:[1,0,0]
	ds_write2_b32 v61, v81, v83 offset1:1
	v_pk_add_f16 v71, v38, v68 op_sel:[0,1] op_sel_hi:[1,0]
	v_pk_add_f16 v38, v38, v68 op_sel:[0,1] op_sel_hi:[1,0] neg_lo:[0,1] neg_hi:[0,1]
	v_pk_add_f16 v68, v39, v76 neg_lo:[0,1] neg_hi:[0,1]
	v_pk_add_f16 v61, v73, v74
	v_pk_mul_f16 v72, v68, s16 op_sel_hi:[1,0]
	v_pk_add_f16 v61, v61, v39
	v_pk_add_f16 v71, v71, v72 op_sel:[0,1] op_sel_hi:[1,0]
	v_pk_add_f16 v38, v38, v72 op_sel:[0,1] op_sel_hi:[1,0] neg_lo:[0,1] neg_hi:[0,1]
	v_pk_add_f16 v61, v61, v76
	v_bfi_b32 v72, s14, v38, v71
	v_pk_add_f16 v61, v61, v69
	v_pk_fma_f16 v72, v36, s17, v72 op_sel_hi:[1,0,1]
	v_pk_add_f16 v58, v74, v69
	ds_write2_b32 v59, v61, v72 offset1:1
	v_pk_add_f16 v39, v39, v74 neg_lo:[0,1] neg_hi:[0,1]
	v_pk_add_f16 v61, v76, v69 neg_lo:[0,1] neg_hi:[0,1]
	v_pk_fma_f16 v58, v58, 0.5, v73 op_sel_hi:[1,0,1] neg_lo:[1,0,0] neg_hi:[1,0,0]
	v_pk_add_f16 v39, v39, v61
	v_pk_mul_f16 v61, v68, s15 op_sel_hi:[1,0]
	v_bfi_b32 v38, s14, v71, v38
	v_pk_add_f16 v68, v58, v61 op_sel:[0,1] op_sel_hi:[1,0] neg_lo:[0,1] neg_hi:[0,1]
	v_pk_add_f16 v58, v58, v61 op_sel:[0,1] op_sel_hi:[1,0]
	v_pk_mul_f16 v61, v67, s16 op_sel_hi:[1,0]
	v_pk_fma_f16 v36, v36, s17, v38 op_sel_hi:[1,0,1]
	v_pk_add_f16 v58, v58, v61 op_sel:[0,1] op_sel_hi:[1,0] neg_lo:[0,1] neg_hi:[0,1]
	v_pk_add_f16 v61, v68, v61 op_sel:[0,1] op_sel_hi:[1,0]
	v_pk_add_f16 v67, v82, v77 neg_lo:[0,1] neg_hi:[0,1]
	v_bfi_b32 v38, s14, v61, v58
	v_pk_fma_f16 v38, v39, s17, v38 op_sel_hi:[1,0,1]
	ds_write2_b32 v59, v38, v36 offset0:3 offset1:4
	v_bfi_b32 v36, s14, v58, v61
	v_pk_fma_f16 v36, v39, s17, v36 op_sel_hi:[1,0,1]
	ds_write_b32 v59, v36 offset:8
	v_pk_add_f16 v36, v70, v77
	v_pk_add_f16 v38, v75, v82
	v_pk_fma_f16 v36, v36, 0.5, v66 op_sel_hi:[1,0,1] neg_lo:[1,0,0] neg_hi:[1,0,0]
	v_pk_fma_f16 v38, v38, 0.5, v66 op_sel_hi:[1,0,1] neg_lo:[1,0,0] neg_hi:[1,0,0]
	v_pk_add_f16 v39, v66, v75
	v_pk_add_f16 v59, v75, v70 neg_lo:[0,1] neg_hi:[0,1]
	v_pk_add_f16 v66, v75, v82 neg_lo:[0,1] neg_hi:[0,1]
	;; [unrolled: 1-line block ×3, first 2 shown]
	v_pk_add_f16 v59, v59, v67
	v_pk_mul_f16 v67, v66, s15 op_sel_hi:[1,0]
	v_pk_add_f16 v39, v39, v70
	v_pk_add_f16 v69, v36, v67 op_sel:[0,1] op_sel_hi:[1,0]
	v_pk_add_f16 v36, v36, v67 op_sel:[0,1] op_sel_hi:[1,0] neg_lo:[0,1] neg_hi:[0,1]
	v_pk_mul_f16 v67, v58, s16 op_sel_hi:[1,0]
	v_pk_add_f16 v39, v39, v77
	v_pk_add_f16 v69, v69, v67 op_sel:[0,1] op_sel_hi:[1,0]
	v_pk_add_f16 v36, v36, v67 op_sel:[0,1] op_sel_hi:[1,0] neg_lo:[0,1] neg_hi:[0,1]
	v_pk_add_f16 v61, v70, v75 neg_lo:[0,1] neg_hi:[0,1]
	v_bfi_b32 v67, s14, v36, v69
	v_pk_add_f16 v68, v77, v82 neg_lo:[0,1] neg_hi:[0,1]
	v_pk_add_f16 v39, v39, v82
	v_pk_fma_f16 v67, v59, s17, v67 op_sel_hi:[1,0,1]
	v_pk_mul_f16 v58, v58, s15 op_sel_hi:[1,0]
	ds_write2_b32 v60, v39, v67 offset1:1
	v_pk_add_f16 v39, v61, v68
	v_pk_add_f16 v61, v38, v58 op_sel:[0,1] op_sel_hi:[1,0] neg_lo:[0,1] neg_hi:[0,1]
	v_pk_add_f16 v38, v38, v58 op_sel:[0,1] op_sel_hi:[1,0]
	v_pk_mul_f16 v58, v66, s16 op_sel_hi:[1,0]
	v_bfi_b32 v36, s14, v69, v36
	v_pk_add_f16 v38, v38, v58 op_sel:[0,1] op_sel_hi:[1,0] neg_lo:[0,1] neg_hi:[0,1]
	v_pk_add_f16 v58, v61, v58 op_sel:[0,1] op_sel_hi:[1,0]
	v_pk_fma_f16 v36, v59, s17, v36 op_sel_hi:[1,0,1]
	v_bfi_b32 v59, s14, v58, v38
	v_pk_fma_f16 v59, v39, s17, v59 op_sel_hi:[1,0,1]
	ds_write2_b32 v60, v59, v36 offset0:3 offset1:4
	v_bfi_b32 v36, s14, v38, v58
	v_pk_fma_f16 v36, v39, s17, v36 op_sel_hi:[1,0,1]
	ds_write_b32 v60, v36 offset:8
	s_waitcnt lgkmcnt(0)
	s_barrier
	ds_read_b32 v36, v41 offset:504
	ds_read2_b32 v[38:39], v41 offset0:72 offset1:81
	s_waitcnt lgkmcnt(1)
	v_lshrrev_b32_e32 v58, 16, v36
	v_mul_f16_sdwa v59, v17, v58 dst_sel:DWORD dst_unused:UNUSED_PAD src0_sel:WORD_1 src1_sel:DWORD
	v_fma_f16 v59, v17, v36, v59
	v_mul_f16_sdwa v36, v17, v36 dst_sel:DWORD dst_unused:UNUSED_PAD src0_sel:WORD_1 src1_sel:DWORD
	v_fma_f16 v36, v17, v58, -v36
	s_waitcnt lgkmcnt(0)
	v_lshrrev_b32_e32 v17, 16, v39
	v_mul_f16_sdwa v58, v16, v39 dst_sel:DWORD dst_unused:UNUSED_PAD src0_sel:WORD_1 src1_sel:DWORD
	v_fma_f16 v58, v16, v17, -v58
	v_mul_f16_sdwa v17, v16, v17 dst_sel:DWORD dst_unused:UNUSED_PAD src0_sel:WORD_1 src1_sel:DWORD
	v_fma_f16 v39, v16, v39, v17
	ds_read2_b32 v[16:17], v41 offset0:108 offset1:117
	v_lshrrev_b32_e32 v60, 16, v38
	v_mul_f16_sdwa v61, v12, v60 dst_sel:DWORD dst_unused:UNUSED_PAD src0_sel:WORD_1 src1_sel:DWORD
	v_fma_f16 v61, v12, v38, v61
	v_mul_f16_sdwa v38, v12, v38 dst_sel:DWORD dst_unused:UNUSED_PAD src0_sel:WORD_1 src1_sel:DWORD
	v_fma_f16 v38, v12, v60, -v38
	s_waitcnt lgkmcnt(0)
	v_lshrrev_b32_e32 v12, 16, v17
	v_mul_f16_sdwa v60, v13, v17 dst_sel:DWORD dst_unused:UNUSED_PAD src0_sel:WORD_1 src1_sel:DWORD
	v_fma_f16 v60, v13, v12, -v60
	v_mul_f16_sdwa v12, v13, v12 dst_sel:DWORD dst_unused:UNUSED_PAD src0_sel:WORD_1 src1_sel:DWORD
	v_fma_f16 v17, v13, v17, v12
	ds_read2_b32 v[12:13], v41 offset0:54 offset1:63
	;; [unrolled: 12-line block ×3, first 2 shown]
	v_lshrrev_b32_e32 v68, 16, v12
	v_mul_f16_sdwa v69, v8, v68 dst_sel:DWORD dst_unused:UNUSED_PAD src0_sel:WORD_1 src1_sel:DWORD
	v_fma_f16 v69, v8, v12, v69
	v_mul_f16_sdwa v12, v8, v12 dst_sel:DWORD dst_unused:UNUSED_PAD src0_sel:WORD_1 src1_sel:DWORD
	v_fma_f16 v12, v8, v68, -v12
	s_waitcnt lgkmcnt(0)
	v_lshrrev_b32_e32 v8, 16, v11
	v_mul_f16_sdwa v68, v9, v11 dst_sel:DWORD dst_unused:UNUSED_PAD src0_sel:WORD_1 src1_sel:DWORD
	v_fma_f16 v68, v9, v8, -v68
	v_mul_f16_sdwa v8, v9, v8 dst_sel:DWORD dst_unused:UNUSED_PAD src0_sel:WORD_1 src1_sel:DWORD
	v_fma_f16 v70, v9, v11, v8
	v_lshrrev_b32_e32 v11, 16, v10
	ds_read2_b32 v[8:9], v41 offset0:36 offset1:45
	v_mul_f16_sdwa v71, v7, v11 dst_sel:DWORD dst_unused:UNUSED_PAD src0_sel:WORD_1 src1_sel:DWORD
	v_fma_f16 v71, v7, v10, v71
	v_mul_f16_sdwa v10, v7, v10 dst_sel:DWORD dst_unused:UNUSED_PAD src0_sel:WORD_1 src1_sel:DWORD
	v_fma_f16 v7, v7, v11, -v10
	ds_read2_b32 v[10:11], v41 offset1:9
	s_waitcnt lgkmcnt(1)
	v_lshrrev_b32_e32 v72, 16, v9
	v_mul_f16_sdwa v73, v6, v9 dst_sel:DWORD dst_unused:UNUSED_PAD src0_sel:WORD_1 src1_sel:DWORD
	v_fma_f16 v73, v6, v72, -v73
	v_mul_f16_sdwa v72, v6, v72 dst_sel:DWORD dst_unused:UNUSED_PAD src0_sel:WORD_1 src1_sel:DWORD
	v_fma_f16 v6, v6, v9, v72
	s_waitcnt lgkmcnt(0)
	v_lshrrev_b32_e32 v9, 16, v10
	v_add_f16_e32 v72, v9, v73
	v_add_f16_e32 v72, v72, v7
	v_sub_f16_e32 v74, v73, v7
	v_add_f16_e32 v7, v73, v7
	v_fma_f16 v9, v7, -0.5, v9
	v_add_f16_e32 v7, v10, v6
	v_add_f16_e32 v73, v6, v71
	;; [unrolled: 1-line block ×3, first 2 shown]
	v_sub_f16_e32 v71, v6, v71
	v_fma_f16 v10, v73, -0.5, v10
	v_pack_b32_f16 v72, v7, v72
	v_fma_f16 v6, v74, s13, v10
	v_fma_f16 v7, v71, s12, v9
	;; [unrolled: 1-line block ×4, first 2 shown]
	v_pack_b32_f16 v9, v10, v9
	v_pack_b32_f16 v73, v6, v7
	ds_read2_b32 v[6:7], v41 offset0:18 offset1:27
	s_waitcnt lgkmcnt(0)
	s_barrier
	ds_write_b32 v37, v9 offset:40
	v_add_f16_e32 v9, v69, v70
	v_lshrrev_b32_e32 v10, 16, v11
	ds_write2_b32 v37, v72, v73 offset1:5
	v_fma_f16 v9, v9, -0.5, v11
	v_add_f16_e32 v11, v11, v69
	v_add_f16_e32 v37, v10, v12
	v_sub_f16_e32 v71, v12, v68
	v_add_f16_e32 v12, v12, v68
	v_add_f16_e32 v37, v37, v68
	v_fma_f16 v10, v12, -0.5, v10
	v_add_f16_e32 v11, v11, v70
	v_sub_f16_e32 v12, v69, v70
	v_pack_b32_f16 v11, v11, v37
	v_fma_f16 v37, v71, s13, v9
	v_fma_f16 v68, v12, s12, v10
	;; [unrolled: 1-line block ×4, first 2 shown]
	v_pack_b32_f16 v9, v9, v10
	ds_write_b32 v62, v9 offset:40
	v_lshrrev_b32_e32 v9, 16, v6
	v_pack_b32_f16 v37, v37, v68
	v_add_f16_e32 v10, v9, v66
	v_add_f16_e32 v12, v66, v16
	ds_write2_b32 v62, v11, v37 offset1:5
	v_add_f16_e32 v10, v10, v16
	v_sub_f16_e32 v11, v66, v16
	v_fma_f16 v9, v12, -0.5, v9
	v_add_f16_e32 v12, v6, v13
	v_add_f16_e32 v16, v13, v67
	;; [unrolled: 1-line block ×3, first 2 shown]
	v_sub_f16_e32 v13, v13, v67
	v_fma_f16 v6, v16, -0.5, v6
	v_pack_b32_f16 v10, v12, v10
	v_fma_f16 v12, v11, s13, v6
	v_fma_f16 v16, v13, s12, v9
	;; [unrolled: 1-line block ×4, first 2 shown]
	v_pack_b32_f16 v6, v6, v9
	v_pack_b32_f16 v12, v12, v16
	ds_write_b32 v63, v6 offset:40
	v_add_f16_e32 v6, v61, v17
	ds_write2_b32 v63, v10, v12 offset1:5
	v_fma_f16 v6, v6, -0.5, v7
	v_lshrrev_b32_e32 v9, 16, v7
	v_sub_f16_e32 v10, v38, v60
	v_add_f16_e32 v12, v38, v60
	v_fma_f16 v11, v10, s13, v6
	v_fma_f16 v6, v10, s12, v6
	v_add_f16_e32 v10, v9, v38
	v_fma_f16 v9, v12, -0.5, v9
	v_sub_f16_e32 v12, v61, v17
	v_add_f16_e32 v7, v7, v61
	v_fma_f16 v13, v12, s12, v9
	v_fma_f16 v9, v12, s13, v9
	v_add_f16_e32 v12, v39, v59
	v_add_f16_e32 v7, v7, v17
	v_fma_f16 v12, v12, -0.5, v8
	v_lshrrev_b32_e32 v16, 16, v8
	v_sub_f16_e32 v17, v58, v36
	v_fma_f16 v37, v17, s13, v12
	v_fma_f16 v12, v17, s12, v12
	v_add_f16_e32 v17, v16, v58
	v_add_f16_e32 v17, v17, v36
	;; [unrolled: 1-line block ×5, first 2 shown]
	v_fma_f16 v16, v36, -0.5, v16
	v_sub_f16_e32 v36, v39, v59
	v_add_f16_e32 v8, v8, v59
	v_fma_f16 v38, v36, s12, v16
	v_pack_b32_f16 v7, v7, v10
	v_pack_b32_f16 v10, v11, v13
	v_pack_b32_f16 v6, v6, v9
	v_fma_f16 v16, v36, s13, v16
	ds_write2_b32 v64, v7, v10 offset1:5
	ds_write_b32 v64, v6 offset:40
	v_pack_b32_f16 v6, v8, v17
	v_pack_b32_f16 v7, v37, v38
	ds_write2_b32 v65, v6, v7 offset1:5
	v_pack_b32_f16 v6, v12, v16
	ds_write_b32 v65, v6 offset:40
	s_waitcnt lgkmcnt(0)
	s_barrier
	ds_read2_b32 v[6:7], v41 offset0:90 offset1:99
	ds_read2_b32 v[8:9], v41 offset0:72 offset1:81
	ds_read_b32 v16, v41 offset:504
	ds_read2_b32 v[10:11], v41 offset0:54 offset1:63
	ds_read2_b32 v[12:13], v41 offset0:108 offset1:117
	s_waitcnt lgkmcnt(4)
	v_lshrrev_b32_e32 v17, 16, v6
	s_waitcnt lgkmcnt(3)
	v_lshrrev_b32_e32 v36, 16, v9
	;; [unrolled: 2-line block ×3, first 2 shown]
	v_mul_f16_sdwa v38, v33, v37 dst_sel:DWORD dst_unused:UNUSED_PAD src0_sel:WORD_1 src1_sel:DWORD
	v_fma_f16 v38, v33, v16, v38
	v_mul_f16_sdwa v16, v33, v16 dst_sel:DWORD dst_unused:UNUSED_PAD src0_sel:WORD_1 src1_sel:DWORD
	v_fma_f16 v16, v33, v37, -v16
	v_mul_f16_sdwa v33, v32, v9 dst_sel:DWORD dst_unused:UNUSED_PAD src0_sel:WORD_1 src1_sel:DWORD
	v_fma_f16 v33, v32, v36, -v33
	v_mul_f16_sdwa v36, v32, v36 dst_sel:DWORD dst_unused:UNUSED_PAD src0_sel:WORD_1 src1_sel:DWORD
	v_fma_f16 v32, v32, v9, v36
	v_lshrrev_b32_e32 v9, 16, v8
	v_mul_f16_sdwa v36, v30, v9 dst_sel:DWORD dst_unused:UNUSED_PAD src0_sel:WORD_1 src1_sel:DWORD
	v_fma_f16 v36, v30, v8, v36
	v_mul_f16_sdwa v8, v30, v8 dst_sel:DWORD dst_unused:UNUSED_PAD src0_sel:WORD_1 src1_sel:DWORD
	s_waitcnt lgkmcnt(0)
	v_lshrrev_b32_e32 v37, 16, v13
	v_fma_f16 v30, v30, v9, -v8
	v_mul_f16_sdwa v8, v31, v13 dst_sel:DWORD dst_unused:UNUSED_PAD src0_sel:WORD_1 src1_sel:DWORD
	v_fma_f16 v39, v31, v37, -v8
	v_mul_f16_sdwa v8, v31, v37 dst_sel:DWORD dst_unused:UNUSED_PAD src0_sel:WORD_1 src1_sel:DWORD
	v_fma_f16 v13, v31, v13, v8
	v_lshrrev_b32_e32 v8, 16, v12
	v_mul_f16_sdwa v9, v29, v8 dst_sel:DWORD dst_unused:UNUSED_PAD src0_sel:WORD_1 src1_sel:DWORD
	v_fma_f16 v31, v29, v12, v9
	v_mul_f16_sdwa v9, v29, v12 dst_sel:DWORD dst_unused:UNUSED_PAD src0_sel:WORD_1 src1_sel:DWORD
	v_lshrrev_b32_e32 v12, 16, v11
	v_fma_f16 v29, v29, v8, -v9
	v_mul_f16_sdwa v8, v28, v11 dst_sel:DWORD dst_unused:UNUSED_PAD src0_sel:WORD_1 src1_sel:DWORD
	v_fma_f16 v37, v28, v12, -v8
	v_mul_f16_sdwa v8, v28, v12 dst_sel:DWORD dst_unused:UNUSED_PAD src0_sel:WORD_1 src1_sel:DWORD
	v_fma_f16 v12, v28, v11, v8
	v_lshrrev_b32_e32 v8, 16, v10
	v_mul_f16_sdwa v9, v22, v8 dst_sel:DWORD dst_unused:UNUSED_PAD src0_sel:WORD_1 src1_sel:DWORD
	v_fma_f16 v28, v22, v10, v9
	v_mul_f16_sdwa v9, v22, v10 dst_sel:DWORD dst_unused:UNUSED_PAD src0_sel:WORD_1 src1_sel:DWORD
	v_lshrrev_b32_e32 v10, 16, v7
	v_fma_f16 v22, v22, v8, -v9
	v_mul_f16_sdwa v8, v23, v7 dst_sel:DWORD dst_unused:UNUSED_PAD src0_sel:WORD_1 src1_sel:DWORD
	v_fma_f16 v58, v23, v10, -v8
	v_mul_f16_sdwa v8, v23, v10 dst_sel:DWORD dst_unused:UNUSED_PAD src0_sel:WORD_1 src1_sel:DWORD
	v_fma_f16 v23, v23, v7, v8
	ds_read2_b32 v[8:9], v41 offset0:36 offset1:45
	v_mul_f16_sdwa v7, v15, v17 dst_sel:DWORD dst_unused:UNUSED_PAD src0_sel:WORD_1 src1_sel:DWORD
	v_fma_f16 v10, v15, v6, v7
	v_mul_f16_sdwa v6, v15, v6 dst_sel:DWORD dst_unused:UNUSED_PAD src0_sel:WORD_1 src1_sel:DWORD
	v_fma_f16 v11, v15, v17, -v6
	ds_read2_b32 v[6:7], v41 offset1:9
	s_waitcnt lgkmcnt(1)
	v_lshrrev_b32_e32 v15, 16, v9
	v_mul_f16_sdwa v17, v14, v9 dst_sel:DWORD dst_unused:UNUSED_PAD src0_sel:WORD_1 src1_sel:DWORD
	v_fma_f16 v17, v14, v15, -v17
	v_mul_f16_sdwa v15, v14, v15 dst_sel:DWORD dst_unused:UNUSED_PAD src0_sel:WORD_1 src1_sel:DWORD
	v_fma_f16 v9, v14, v9, v15
	s_waitcnt lgkmcnt(0)
	v_lshrrev_b32_e32 v14, 16, v6
	v_add_f16_e32 v15, v14, v17
	v_add_f16_e32 v15, v15, v11
	v_sub_f16_e32 v59, v17, v11
	v_add_f16_e32 v11, v17, v11
	v_fma_f16 v14, v11, -0.5, v14
	v_add_f16_e32 v11, v6, v9
	v_add_f16_e32 v17, v9, v10
	;; [unrolled: 1-line block ×3, first 2 shown]
	v_sub_f16_e32 v9, v9, v10
	v_fma_f16 v6, v17, -0.5, v6
	v_pack_b32_f16 v15, v11, v15
	v_fma_f16 v10, v59, s13, v6
	v_fma_f16 v11, v9, s12, v14
	v_pack_b32_f16 v17, v10, v11
	ds_read2_b32 v[10:11], v41 offset0:18 offset1:27
	v_fma_f16 v9, v9, s13, v14
	v_add_f16_e32 v14, v28, v23
	s_waitcnt lgkmcnt(0)
	s_barrier
	ds_write2_b32 v41, v15, v17 offset1:15
	v_fma_f16 v14, v14, -0.5, v7
	v_lshrrev_b32_e32 v15, 16, v7
	v_sub_f16_e32 v17, v22, v58
	v_fma_f16 v6, v59, s12, v6
	v_fma_f16 v59, v17, s13, v14
	;; [unrolled: 1-line block ×3, first 2 shown]
	v_add_f16_e32 v17, v15, v22
	v_add_f16_e32 v22, v22, v58
	;; [unrolled: 1-line block ×3, first 2 shown]
	v_fma_f16 v15, v22, -0.5, v15
	v_sub_f16_e32 v22, v28, v23
	v_add_f16_e32 v7, v7, v23
	v_fma_f16 v23, v22, s12, v15
	v_fma_f16 v15, v22, s13, v15
	v_add_f16_e32 v22, v12, v31
	v_fma_f16 v22, v22, -0.5, v10
	v_sub_f16_e32 v28, v37, v29
	v_add_f16_e32 v17, v17, v58
	v_fma_f16 v58, v28, s13, v22
	v_fma_f16 v22, v28, s12, v22
	v_lshrrev_b32_e32 v28, 16, v10
	v_add_f16_e32 v60, v28, v37
	v_add_f16_e32 v60, v60, v29
	;; [unrolled: 1-line block ×3, first 2 shown]
	v_fma_f16 v28, v29, -0.5, v28
	v_add_f16_e32 v10, v10, v12
	v_sub_f16_e32 v12, v12, v31
	v_fma_f16 v29, v12, s12, v28
	v_fma_f16 v12, v12, s13, v28
	v_add_f16_e32 v28, v36, v13
	v_add_f16_e32 v10, v10, v31
	v_fma_f16 v28, v28, -0.5, v11
	v_lshrrev_b32_e32 v31, 16, v11
	v_sub_f16_e32 v37, v30, v39
	v_add_f16_e32 v11, v11, v36
	v_fma_f16 v61, v37, s13, v28
	v_fma_f16 v28, v37, s12, v28
	v_add_f16_e32 v37, v31, v30
	v_add_f16_e32 v30, v30, v39
	v_fma_f16 v30, v30, -0.5, v31
	v_add_f16_e32 v11, v11, v13
	v_sub_f16_e32 v13, v36, v13
	v_pack_b32_f16 v6, v6, v9
	v_fma_f16 v31, v13, s12, v30
	v_fma_f16 v13, v13, s13, v30
	v_add_f16_e32 v30, v32, v38
	ds_write_b32 v41, v6 offset:120
	v_pack_b32_f16 v6, v7, v17
	v_pack_b32_f16 v7, v59, v23
	v_add_f16_e32 v37, v37, v39
	v_fma_f16 v30, v30, -0.5, v8
	v_lshrrev_b32_e32 v36, 16, v8
	v_sub_f16_e32 v39, v33, v16
	ds_write2_b32 v1, v6, v7 offset1:15
	v_pack_b32_f16 v6, v14, v15
	v_fma_f16 v62, v39, s13, v30
	v_fma_f16 v30, v39, s12, v30
	v_add_f16_e32 v39, v36, v33
	ds_write_b32 v1, v6 offset:120
	v_pack_b32_f16 v1, v10, v60
	v_pack_b32_f16 v6, v58, v29
	v_add_f16_e32 v39, v39, v16
	v_add_f16_e32 v16, v33, v16
	ds_write2_b32 v41, v1, v6 offset0:48 offset1:63
	v_pack_b32_f16 v1, v22, v12
	v_add_f16_e32 v8, v8, v32
	v_fma_f16 v16, v16, -0.5, v36
	v_sub_f16_e32 v32, v32, v38
	ds_write_b32 v41, v1 offset:312
	v_pack_b32_f16 v1, v11, v37
	v_pack_b32_f16 v6, v61, v31
	v_add_f16_e32 v8, v8, v38
	v_fma_f16 v33, v32, s12, v16
	ds_write2_b32 v3, v1, v6 offset1:15
	v_pack_b32_f16 v1, v28, v13
	v_fma_f16 v16, v32, s13, v16
	ds_write_b32 v3, v1 offset:120
	v_pack_b32_f16 v1, v8, v39
	v_pack_b32_f16 v3, v62, v33
	ds_write2_b32 v5, v1, v3 offset0:90 offset1:105
	v_pack_b32_f16 v1, v30, v16
	ds_write_b32 v5, v1 offset:480
	s_waitcnt lgkmcnt(0)
	s_barrier
	ds_read2_b32 v[6:7], v41 offset1:9
	ds_read2_b32 v[8:9], v41 offset0:36 offset1:45
	ds_read2_b32 v[10:11], v41 offset0:90 offset1:99
	;; [unrolled: 1-line block ×5, first 2 shown]
	s_waitcnt lgkmcnt(4)
	v_lshrrev_b32_e32 v3, 16, v9
	v_mul_f16_sdwa v37, v26, v3 dst_sel:DWORD dst_unused:UNUSED_PAD src0_sel:WORD_1 src1_sel:DWORD
	s_waitcnt lgkmcnt(3)
	v_lshrrev_b32_e32 v30, 16, v11
	v_fma_f16 v37, v26, v9, v37
	v_mul_f16_sdwa v9, v26, v9 dst_sel:DWORD dst_unused:UNUSED_PAD src0_sel:WORD_1 src1_sel:DWORD
	v_fma_f16 v3, v26, v3, -v9
	v_mul_f16_sdwa v26, v25, v30 dst_sel:DWORD dst_unused:UNUSED_PAD src0_sel:WORD_1 src1_sel:DWORD
	v_fma_f16 v26, v25, v11, v26
	v_mul_f16_sdwa v11, v25, v11 dst_sel:DWORD dst_unused:UNUSED_PAD src0_sel:WORD_1 src1_sel:DWORD
	s_waitcnt lgkmcnt(2)
	v_lshrrev_b32_e32 v29, 16, v12
	v_fma_f16 v11, v25, v30, -v11
	v_mul_f16_sdwa v25, v24, v12 dst_sel:DWORD dst_unused:UNUSED_PAD src0_sel:WORD_1 src1_sel:DWORD
	v_lshrrev_b32_e32 v32, 16, v13
	v_fma_f16 v25, v24, v29, -v25
	v_mul_f16_sdwa v29, v24, v29 dst_sel:DWORD dst_unused:UNUSED_PAD src0_sel:WORD_1 src1_sel:DWORD
	v_lshrrev_b32_e32 v5, 16, v10
	v_mul_f16_sdwa v9, v27, v10 dst_sel:DWORD dst_unused:UNUSED_PAD src0_sel:WORD_1 src1_sel:DWORD
	v_fma_f16 v12, v24, v12, v29
	v_mul_f16_sdwa v29, v20, v32 dst_sel:DWORD dst_unused:UNUSED_PAD src0_sel:WORD_1 src1_sel:DWORD
	s_waitcnt lgkmcnt(1)
	v_lshrrev_b32_e32 v33, 16, v16
	v_fma_f16 v9, v27, v5, -v9
	v_mul_f16_sdwa v5, v27, v5 dst_sel:DWORD dst_unused:UNUSED_PAD src0_sel:WORD_1 src1_sel:DWORD
	v_fma_f16 v29, v20, v13, v29
	v_mul_f16_sdwa v13, v20, v13 dst_sel:DWORD dst_unused:UNUSED_PAD src0_sel:WORD_1 src1_sel:DWORD
	v_fma_f16 v5, v27, v10, v5
	v_lshrrev_b32_e32 v27, 16, v17
	ds_read_b32 v30, v41 offset:504
	v_fma_f16 v13, v20, v32, -v13
	v_mul_f16_sdwa v32, v21, v33 dst_sel:DWORD dst_unused:UNUSED_PAD src0_sel:WORD_1 src1_sel:DWORD
	v_mul_f16_sdwa v20, v21, v16 dst_sel:DWORD dst_unused:UNUSED_PAD src0_sel:WORD_1 src1_sel:DWORD
	v_fma_f16 v16, v21, v16, v32
	v_mul_f16_sdwa v32, v19, v27 dst_sel:DWORD dst_unused:UNUSED_PAD src0_sel:WORD_1 src1_sel:DWORD
	v_fma_f16 v32, v19, v17, v32
	v_mul_f16_sdwa v17, v19, v17 dst_sel:DWORD dst_unused:UNUSED_PAD src0_sel:WORD_1 src1_sel:DWORD
	s_waitcnt lgkmcnt(1)
	v_lshrrev_b32_e32 v10, 16, v22
	v_fma_f16 v17, v19, v27, -v17
	v_mul_f16_sdwa v19, v18, v22 dst_sel:DWORD dst_unused:UNUSED_PAD src0_sel:WORD_1 src1_sel:DWORD
	v_fma_f16 v19, v18, v10, -v19
	v_mul_f16_sdwa v10, v18, v10 dst_sel:DWORD dst_unused:UNUSED_PAD src0_sel:WORD_1 src1_sel:DWORD
	v_fma_f16 v20, v21, v33, -v20
	v_lshrrev_b32_e32 v21, 16, v23
	s_waitcnt lgkmcnt(0)
	v_lshrrev_b32_e32 v33, 16, v30
	v_fma_f16 v10, v18, v22, v10
	v_mul_f16_sdwa v22, v34, v23 dst_sel:DWORD dst_unused:UNUSED_PAD src0_sel:WORD_1 src1_sel:DWORD
	v_mul_f16_sdwa v18, v34, v21 dst_sel:DWORD dst_unused:UNUSED_PAD src0_sel:WORD_1 src1_sel:DWORD
	v_fma_f16 v21, v34, v21, -v22
	v_mul_f16_sdwa v22, v35, v33 dst_sel:DWORD dst_unused:UNUSED_PAD src0_sel:WORD_1 src1_sel:DWORD
	v_fma_f16 v18, v34, v23, v18
	v_fma_f16 v22, v35, v30, v22
	v_mul_f16_sdwa v23, v35, v30 dst_sel:DWORD dst_unused:UNUSED_PAD src0_sel:WORD_1 src1_sel:DWORD
	v_add_f16_e32 v30, v37, v5
	v_lshrrev_b32_e32 v1, 16, v6
	v_add_f16_e32 v27, v6, v37
	v_fma_f16 v6, v30, -0.5, v6
	v_sub_f16_e32 v30, v3, v9
	v_fma_f16 v23, v35, v33, -v23
	v_fma_f16 v33, v30, s13, v6
	v_fma_f16 v6, v30, s12, v6
	v_add_f16_e32 v30, v1, v3
	v_add_f16_e32 v3, v3, v9
	ds_read2_b32 v[14:15], v41 offset0:18 offset1:27
	v_add_f16_e32 v30, v30, v9
	v_fma_f16 v1, v3, -0.5, v1
	v_sub_f16_e32 v3, v37, v5
	v_add_f16_e32 v9, v12, v26
	v_lshrrev_b32_e32 v28, 16, v7
	v_add_f16_e32 v27, v27, v5
	v_fma_f16 v5, v3, s12, v1
	v_fma_f16 v1, v3, s13, v1
	v_add_f16_e32 v3, v7, v12
	v_fma_f16 v7, v9, -0.5, v7
	v_sub_f16_e32 v9, v25, v11
	v_fma_f16 v34, v9, s13, v7
	v_fma_f16 v7, v9, s12, v7
	v_add_f16_e32 v9, v28, v25
	v_add_f16_e32 v9, v9, v11
	;; [unrolled: 1-line block ×4, first 2 shown]
	v_fma_f16 v11, v11, -0.5, v28
	v_sub_f16_e32 v12, v12, v26
	v_add_f16_e32 v26, v29, v16
	s_waitcnt lgkmcnt(0)
	v_lshrrev_b32_e32 v31, 16, v14
	v_fma_f16 v25, v12, s12, v11
	v_fma_f16 v11, v12, s13, v11
	v_add_f16_e32 v12, v14, v29
	v_fma_f16 v14, v26, -0.5, v14
	v_sub_f16_e32 v26, v13, v20
	v_fma_f16 v28, v26, s13, v14
	v_fma_f16 v14, v26, s12, v14
	v_add_f16_e32 v26, v31, v13
	v_add_f16_e32 v13, v13, v20
	;; [unrolled: 1-line block ×3, first 2 shown]
	v_fma_f16 v13, v13, -0.5, v31
	v_sub_f16_e32 v16, v29, v16
	v_add_f16_e32 v29, v10, v32
	v_lshrrev_b32_e32 v36, 16, v15
	v_add_f16_e32 v26, v26, v20
	v_fma_f16 v20, v16, s12, v13
	v_fma_f16 v13, v16, s13, v13
	v_add_f16_e32 v16, v15, v10
	v_fma_f16 v15, v29, -0.5, v15
	v_sub_f16_e32 v29, v19, v17
	v_fma_f16 v31, v29, s13, v15
	v_fma_f16 v15, v29, s12, v15
	v_add_f16_e32 v29, v36, v19
	v_add_f16_e32 v29, v29, v17
	;; [unrolled: 1-line block ×4, first 2 shown]
	v_fma_f16 v17, v17, -0.5, v36
	v_sub_f16_e32 v10, v10, v32
	v_add_f16_e32 v32, v18, v22
	v_lshrrev_b32_e32 v24, 16, v8
	v_fma_f16 v19, v10, s12, v17
	v_fma_f16 v10, v10, s13, v17
	v_add_f16_e32 v17, v8, v18
	v_fma_f16 v8, v32, -0.5, v8
	v_sub_f16_e32 v32, v21, v23
	v_fma_f16 v35, v32, s13, v8
	v_fma_f16 v8, v32, s12, v8
	v_add_f16_e32 v32, v24, v21
	v_add_f16_e32 v21, v21, v23
	v_fma_f16 v21, v21, -0.5, v24
	v_sub_f16_e32 v18, v18, v22
	v_pack_b32_f16 v1, v6, v1
	v_add_f16_e32 v17, v17, v22
	v_fma_f16 v22, v18, s12, v21
	v_fma_f16 v18, v18, s13, v21
	v_pack_b32_f16 v21, v27, v30
	v_pack_b32_f16 v5, v33, v5
	ds_write_b32 v41, v1 offset:360
	v_pack_b32_f16 v1, v3, v9
	ds_write_b32 v41, v5 offset:180
	ds_write2_b32 v41, v21, v1 offset1:9
	v_pack_b32_f16 v1, v34, v25
	v_pack_b32_f16 v3, v7, v11
	v_pack_b32_f16 v5, v28, v20
	ds_write_b32 v41, v3 offset:396
	v_pack_b32_f16 v3, v12, v26
	ds_write2_b32 v41, v1, v5 offset0:54 offset1:63
	v_pack_b32_f16 v5, v16, v29
	v_add_f16_e32 v32, v32, v23
	v_pack_b32_f16 v1, v14, v13
	ds_write2_b32 v41, v3, v5 offset0:18 offset1:27
	v_pack_b32_f16 v5, v15, v10
	ds_write2_b32 v41, v1, v5 offset0:108 offset1:117
	v_pack_b32_f16 v1, v17, v32
	v_pack_b32_f16 v3, v31, v19
	ds_write_b32 v41, v1 offset:144
	v_pack_b32_f16 v1, v35, v22
	ds_write2_b32 v41, v3, v1 offset0:72 offset1:81
	v_pack_b32_f16 v1, v8, v18
	ds_write_b32 v41, v1 offset:504
	s_waitcnt lgkmcnt(0)
	s_barrier
	ds_read2_b32 v[6:7], v41 offset1:9
	v_mov_b32_e32 v8, s0
	v_mov_b32_e32 v9, s1
	s_waitcnt lgkmcnt(0)
	v_lshrrev_b32_e32 v1, 16, v6
	v_mul_f16_sdwa v3, v57, v1 dst_sel:DWORD dst_unused:UNUSED_PAD src0_sel:WORD_1 src1_sel:DWORD
	v_fma_f16 v3, v57, v6, v3
	v_cvt_f32_f16_e32 v5, v3
	v_mov_b32_e32 v3, v4
	v_mul_f16_sdwa v6, v57, v6 dst_sel:DWORD dst_unused:UNUSED_PAD src0_sel:WORD_1 src1_sel:DWORD
	v_fma_f16 v1, v57, v1, -v6
	v_cvt_f64_f32_e32 v[4:5], v5
	v_mul_f64 v[4:5], v[4:5], s[2:3]
	v_and_or_b32 v4, v5, s6, v4
	v_cmp_ne_u32_e32 vcc, 0, v4
	v_lshrrev_b32_e32 v10, 8, v5
	v_bfe_u32 v11, v5, 20, 11
	v_cndmask_b32_e64 v4, 0, 1, vcc
	v_and_or_b32 v4, v10, s7, v4
	v_sub_u32_e32 v12, 0x3f1, v11
	v_or_b32_e32 v10, 0x1000, v4
	v_med3_i32 v12, v12, 0, 13
	v_lshrrev_b32_e32 v13, v12, v10
	v_lshlrev_b32_e32 v12, v12, v13
	v_cmp_ne_u32_e32 vcc, v12, v10
	v_add_u32_e32 v11, 0xfffffc10, v11
	v_lshl_or_b32 v12, v11, 12, v4
	v_cndmask_b32_e64 v10, 0, 1, vcc
	v_or_b32_e32 v10, v13, v10
	v_cmp_gt_i32_e32 vcc, 1, v11
	v_cvt_f32_f16_e32 v1, v1
	v_and_b32_sdwa v14, v5, s9 dst_sel:DWORD dst_unused:UNUSED_PAD src0_sel:WORD_1 src1_sel:DWORD
	v_cndmask_b32_e32 v10, v12, v10, vcc
	v_and_b32_e32 v12, 7, v10
	v_cmp_lt_i32_e32 vcc, 5, v12
	v_cmp_eq_u32_e64 s[0:1], 3, v12
	v_lshrrev_b32_e32 v10, 2, v10
	s_or_b64 vcc, s[0:1], vcc
	v_addc_co_u32_e32 v12, vcc, 0, v10, vcc
	v_mov_b32_e32 v10, 0x7c00
	v_cmp_gt_i32_e32 vcc, 31, v11
	s_nop 1
	v_cndmask_b32_e32 v12, v10, v12, vcc
	v_cmp_ne_u32_e32 vcc, 0, v4
	s_nop 1
	v_cndmask_b32_e64 v4, 0, 1, vcc
	v_lshl_or_b32 v4, v4, 9, v10
	v_cmp_eq_u32_e32 vcc, s8, v11
	s_nop 1
	v_cndmask_b32_e32 v11, v12, v4, vcc
	v_cvt_f64_f32_e32 v[4:5], v1
	v_mul_f64 v[4:5], v[4:5], s[2:3]
	v_and_or_b32 v1, v5, s6, v4
	v_cmp_ne_u32_e32 vcc, 0, v1
	v_lshrrev_b32_e32 v4, 8, v5
	v_bfe_u32 v6, v5, 20, 11
	v_cndmask_b32_e64 v1, 0, 1, vcc
	v_and_or_b32 v1, v4, s7, v1
	v_sub_u32_e32 v12, 0x3f1, v6
	v_or_b32_e32 v4, 0x1000, v1
	v_med3_i32 v12, v12, 0, 13
	v_lshrrev_b32_e32 v13, v12, v4
	v_lshlrev_b32_e32 v12, v12, v13
	v_cmp_ne_u32_e32 vcc, v12, v4
	v_add_u32_e32 v6, 0xfffffc10, v6
	v_lshl_or_b32 v12, v6, 12, v1
	v_cndmask_b32_e64 v4, 0, 1, vcc
	v_or_b32_e32 v4, v13, v4
	v_cmp_gt_i32_e32 vcc, 1, v6
	s_nop 1
	v_cndmask_b32_e32 v4, v12, v4, vcc
	v_and_b32_e32 v12, 7, v4
	v_cmp_lt_i32_e32 vcc, 5, v12
	v_cmp_eq_u32_e64 s[0:1], 3, v12
	v_lshrrev_b32_e32 v4, 2, v4
	s_or_b64 vcc, s[0:1], vcc
	v_addc_co_u32_e32 v4, vcc, 0, v4, vcc
	v_cmp_gt_i32_e32 vcc, 31, v6
	v_mad_u64_u32 v[12:13], s[0:1], s4, v0, 0
	s_nop 0
	v_cndmask_b32_e32 v4, v10, v4, vcc
	v_cmp_ne_u32_e32 vcc, 0, v1
	s_nop 1
	v_cndmask_b32_e64 v1, 0, 1, vcc
	v_lshl_or_b32 v1, v1, 9, v10
	v_cmp_eq_u32_e32 vcc, s8, v6
	v_mov_b32_e32 v6, v13
	s_nop 0
	v_cndmask_b32_e32 v1, v4, v1, vcc
	v_lshrrev_b32_e32 v4, 16, v5
	v_and_or_b32 v15, v4, s9, v1
	ds_read2_b32 v[4:5], v41 offset0:18 offset1:27
	v_mad_u64_u32 v[0:1], s[0:1], s5, v0, v[6:7]
	v_mov_b32_e32 v13, v0
	v_bitop3_b32 v0, v14, s14, v11 bitop3:0xc8
	s_waitcnt lgkmcnt(0)
	v_lshrrev_b32_e32 v11, 16, v5
	v_lshl_or_b32 v6, v15, 16, v0
	v_mul_f16_sdwa v0, v56, v11 dst_sel:DWORD dst_unused:UNUSED_PAD src0_sel:WORD_1 src1_sel:DWORD
	v_fma_f16 v0, v56, v5, v0
	v_cvt_f32_f16_e32 v14, v0
	v_lshl_add_u64 v[0:1], v[2:3], 2, v[8:9]
	v_lshl_add_u64 v[0:1], v[12:13], 2, v[0:1]
	global_store_dword v[0:1], v6, off
	v_cvt_f64_f32_e32 v[2:3], v14
	v_mul_f64 v[2:3], v[2:3], s[2:3]
	v_and_or_b32 v2, v3, s6, v2
	v_cmp_ne_u32_e32 vcc, 0, v2
	v_lshrrev_b32_e32 v6, 8, v3
	v_bfe_u32 v8, v3, 20, 11
	v_cndmask_b32_e64 v2, 0, 1, vcc
	v_and_or_b32 v2, v6, s7, v2
	v_sub_u32_e32 v9, 0x3f1, v8
	v_or_b32_e32 v6, 0x1000, v2
	v_med3_i32 v9, v9, 0, 13
	v_lshrrev_b32_e32 v12, v9, v6
	v_lshlrev_b32_e32 v9, v9, v12
	v_cmp_ne_u32_e32 vcc, v9, v6
	v_add_u32_e32 v8, 0xfffffc10, v8
	v_lshl_or_b32 v9, v8, 12, v2
	v_cndmask_b32_e64 v6, 0, 1, vcc
	v_or_b32_e32 v6, v12, v6
	v_cmp_gt_i32_e32 vcc, 1, v8
	v_mul_f16_sdwa v5, v56, v5 dst_sel:DWORD dst_unused:UNUSED_PAD src0_sel:WORD_1 src1_sel:DWORD
	v_fma_f16 v5, v56, v11, -v5
	v_cndmask_b32_e32 v6, v9, v6, vcc
	v_and_b32_e32 v9, 7, v6
	v_cmp_lt_i32_e32 vcc, 5, v9
	v_cmp_eq_u32_e64 s[0:1], 3, v9
	v_lshrrev_b32_e32 v6, 2, v6
	s_or_b64 vcc, s[0:1], vcc
	v_addc_co_u32_e32 v6, vcc, 0, v6, vcc
	v_cmp_gt_i32_e32 vcc, 31, v8
	v_cvt_f32_f16_e32 v5, v5
	s_nop 0
	v_cndmask_b32_e32 v6, v10, v6, vcc
	v_cmp_ne_u32_e32 vcc, 0, v2
	s_nop 1
	v_cndmask_b32_e64 v2, 0, 1, vcc
	v_lshl_or_b32 v2, v2, 9, v10
	v_cmp_eq_u32_e32 vcc, s8, v8
	v_and_b32_sdwa v8, v3, s9 dst_sel:DWORD dst_unused:UNUSED_PAD src0_sel:WORD_1 src1_sel:DWORD
	s_nop 0
	v_cndmask_b32_e32 v6, v6, v2, vcc
	v_cvt_f64_f32_e32 v[2:3], v5
	v_mul_f64 v[2:3], v[2:3], s[2:3]
	v_and_or_b32 v2, v3, s6, v2
	v_cmp_ne_u32_e32 vcc, 0, v2
	v_lshrrev_b32_e32 v5, 8, v3
	v_bfe_u32 v9, v3, 20, 11
	v_cndmask_b32_e64 v2, 0, 1, vcc
	v_and_or_b32 v2, v5, s7, v2
	v_sub_u32_e32 v11, 0x3f1, v9
	v_or_b32_e32 v5, 0x1000, v2
	v_med3_i32 v11, v11, 0, 13
	v_lshrrev_b32_e32 v12, v11, v5
	v_lshlrev_b32_e32 v11, v11, v12
	v_cmp_ne_u32_e32 vcc, v11, v5
	v_add_u32_e32 v9, 0xfffffc10, v9
	v_lshl_or_b32 v11, v9, 12, v2
	v_cndmask_b32_e64 v5, 0, 1, vcc
	v_or_b32_e32 v5, v12, v5
	v_cmp_gt_i32_e32 vcc, 1, v9
	v_lshrrev_b32_e32 v3, 16, v3
	v_bitop3_b32 v6, v8, s14, v6 bitop3:0xc8
	v_cndmask_b32_e32 v5, v11, v5, vcc
	v_and_b32_e32 v11, 7, v5
	v_cmp_lt_i32_e32 vcc, 5, v11
	v_cmp_eq_u32_e64 s[0:1], 3, v11
	v_lshrrev_b32_e32 v5, 2, v5
	s_or_b64 vcc, s[0:1], vcc
	v_addc_co_u32_e32 v5, vcc, 0, v5, vcc
	v_cmp_gt_i32_e32 vcc, 31, v9
	s_nop 1
	v_cndmask_b32_e32 v5, v10, v5, vcc
	v_cmp_ne_u32_e32 vcc, 0, v2
	s_nop 1
	v_cndmask_b32_e64 v2, 0, 1, vcc
	v_lshl_or_b32 v2, v2, 9, v10
	v_cmp_eq_u32_e32 vcc, s8, v9
	v_mad_u64_u32 v[8:9], s[0:1], s4, v40, v[0:1]
	s_nop 0
	v_cndmask_b32_e32 v2, v5, v2, vcc
	v_and_or_b32 v5, v3, s9, v2
	ds_read2_b32 v[2:3], v41 offset0:54 offset1:63
	v_lshl_or_b32 v5, v5, 16, v6
	v_add_u32_e32 v9, s10, v9
	global_store_dword v[8:9], v5, off
	s_waitcnt lgkmcnt(0)
	v_lshrrev_b32_e32 v6, 16, v2
	v_mul_f16_sdwa v0, v55, v6 dst_sel:DWORD dst_unused:UNUSED_PAD src0_sel:WORD_1 src1_sel:DWORD
	v_fma_f16 v0, v55, v2, v0
	v_cvt_f32_f16_e32 v0, v0
	v_mul_f16_sdwa v2, v55, v2 dst_sel:DWORD dst_unused:UNUSED_PAD src0_sel:WORD_1 src1_sel:DWORD
	v_fma_f16 v2, v55, v6, -v2
	v_cvt_f32_f16_e32 v2, v2
	v_cvt_f64_f32_e32 v[0:1], v0
	v_mul_f64 v[0:1], v[0:1], s[2:3]
	v_and_or_b32 v0, v1, s6, v0
	v_cmp_ne_u32_e32 vcc, 0, v0
	v_lshrrev_b32_e32 v5, 8, v1
	v_bfe_u32 v11, v1, 20, 11
	v_cndmask_b32_e64 v0, 0, 1, vcc
	v_and_or_b32 v0, v5, s7, v0
	v_sub_u32_e32 v12, 0x3f1, v11
	v_or_b32_e32 v5, 0x1000, v0
	v_med3_i32 v12, v12, 0, 13
	v_lshrrev_b32_e32 v13, v12, v5
	v_lshlrev_b32_e32 v12, v12, v13
	v_cmp_ne_u32_e32 vcc, v12, v5
	v_add_u32_e32 v11, 0xfffffc10, v11
	v_lshl_or_b32 v12, v11, 12, v0
	v_cndmask_b32_e64 v5, 0, 1, vcc
	v_or_b32_e32 v5, v13, v5
	v_cmp_gt_i32_e32 vcc, 1, v11
	v_and_b32_sdwa v6, v1, s9 dst_sel:DWORD dst_unused:UNUSED_PAD src0_sel:WORD_1 src1_sel:DWORD
	s_nop 0
	v_cndmask_b32_e32 v5, v12, v5, vcc
	v_and_b32_e32 v12, 7, v5
	v_cmp_lt_i32_e32 vcc, 5, v12
	v_cmp_eq_u32_e64 s[0:1], 3, v12
	v_lshrrev_b32_e32 v5, 2, v5
	s_or_b64 vcc, s[0:1], vcc
	v_addc_co_u32_e32 v5, vcc, 0, v5, vcc
	v_cmp_gt_i32_e32 vcc, 31, v11
	s_nop 1
	v_cndmask_b32_e32 v5, v10, v5, vcc
	v_cmp_ne_u32_e32 vcc, 0, v0
	s_nop 1
	v_cndmask_b32_e64 v0, 0, 1, vcc
	v_lshl_or_b32 v0, v0, 9, v10
	v_cmp_eq_u32_e32 vcc, s8, v11
	s_nop 1
	v_cndmask_b32_e32 v5, v5, v0, vcc
	v_cvt_f64_f32_e32 v[0:1], v2
	v_mul_f64 v[12:13], v[0:1], s[2:3]
	v_and_or_b32 v0, v13, s6, v12
	v_cmp_ne_u32_e32 vcc, 0, v0
	v_lshrrev_b32_e32 v1, 8, v13
	v_bfe_u32 v2, v13, 20, 11
	v_cndmask_b32_e64 v0, 0, 1, vcc
	v_and_or_b32 v0, v1, s7, v0
	v_sub_u32_e32 v11, 0x3f1, v2
	v_or_b32_e32 v1, 0x1000, v0
	v_med3_i32 v11, v11, 0, 13
	v_lshrrev_b32_e32 v12, v11, v1
	v_lshlrev_b32_e32 v11, v11, v12
	v_cmp_ne_u32_e32 vcc, v11, v1
	v_add_u32_e32 v2, 0xfffffc10, v2
	v_lshl_or_b32 v11, v2, 12, v0
	v_cndmask_b32_e64 v1, 0, 1, vcc
	v_or_b32_e32 v1, v12, v1
	v_cmp_gt_i32_e32 vcc, 1, v2
	v_bitop3_b32 v5, v6, s14, v5 bitop3:0xc8
	s_nop 0
	v_cndmask_b32_e32 v1, v11, v1, vcc
	v_and_b32_e32 v11, 7, v1
	v_cmp_lt_i32_e32 vcc, 5, v11
	v_cmp_eq_u32_e64 s[0:1], 3, v11
	v_lshrrev_b32_e32 v1, 2, v1
	s_or_b64 vcc, s[0:1], vcc
	v_addc_co_u32_e32 v1, vcc, 0, v1, vcc
	v_cmp_gt_i32_e32 vcc, 31, v2
	v_lshrrev_b32_e32 v11, 16, v13
	v_mad_u64_u32 v[12:13], s[0:1], s4, v40, v[8:9]
	v_cndmask_b32_e32 v1, v10, v1, vcc
	v_cmp_ne_u32_e32 vcc, 0, v0
	v_add_u32_e32 v13, s10, v13
	s_nop 0
	v_cndmask_b32_e64 v0, 0, 1, vcc
	v_lshl_or_b32 v0, v0, 9, v10
	v_cmp_eq_u32_e32 vcc, s8, v2
	s_nop 1
	v_cndmask_b32_e32 v2, v1, v0, vcc
	ds_read2_b32 v[0:1], v41 offset0:72 offset1:81
	v_and_or_b32 v2, v11, s9, v2
	v_lshl_or_b32 v2, v2, 16, v5
	global_store_dword v[12:13], v2, off
	s_waitcnt lgkmcnt(0)
	v_lshrrev_b32_e32 v5, 16, v1
	v_mul_f16_sdwa v6, v54, v5 dst_sel:DWORD dst_unused:UNUSED_PAD src0_sel:WORD_1 src1_sel:DWORD
	v_fma_f16 v6, v54, v1, v6
	v_cvt_f32_f16_e32 v6, v6
	v_mul_f16_sdwa v1, v54, v1 dst_sel:DWORD dst_unused:UNUSED_PAD src0_sel:WORD_1 src1_sel:DWORD
	v_fma_f16 v1, v54, v5, -v1
	v_cvt_f32_f16_e32 v1, v1
	v_cvt_f64_f32_e32 v[8:9], v6
	v_mul_f64 v[8:9], v[8:9], s[2:3]
	v_and_or_b32 v2, v9, s6, v8
	v_cmp_ne_u32_e32 vcc, 0, v2
	v_lshrrev_b32_e32 v6, 8, v9
	v_bfe_u32 v8, v9, 20, 11
	v_cndmask_b32_e64 v2, 0, 1, vcc
	v_and_or_b32 v2, v6, s7, v2
	v_sub_u32_e32 v11, 0x3f1, v8
	v_or_b32_e32 v6, 0x1000, v2
	v_med3_i32 v11, v11, 0, 13
	v_lshrrev_b32_e32 v14, v11, v6
	v_lshlrev_b32_e32 v11, v11, v14
	v_cmp_ne_u32_e32 vcc, v11, v6
	v_add_u32_e32 v8, 0xfffffc10, v8
	v_lshl_or_b32 v11, v8, 12, v2
	v_cndmask_b32_e64 v6, 0, 1, vcc
	v_or_b32_e32 v6, v14, v6
	v_cmp_gt_i32_e32 vcc, 1, v8
	v_and_b32_sdwa v5, v9, s9 dst_sel:DWORD dst_unused:UNUSED_PAD src0_sel:WORD_1 src1_sel:DWORD
	s_nop 0
	v_cndmask_b32_e32 v6, v11, v6, vcc
	v_and_b32_e32 v11, 7, v6
	v_cmp_lt_i32_e32 vcc, 5, v11
	v_cmp_eq_u32_e64 s[0:1], 3, v11
	v_lshrrev_b32_e32 v6, 2, v6
	s_or_b64 vcc, s[0:1], vcc
	v_addc_co_u32_e32 v6, vcc, 0, v6, vcc
	v_cmp_gt_i32_e32 vcc, 31, v8
	s_nop 1
	v_cndmask_b32_e32 v6, v10, v6, vcc
	v_cmp_ne_u32_e32 vcc, 0, v2
	s_nop 1
	v_cndmask_b32_e64 v2, 0, 1, vcc
	v_cmp_eq_u32_e32 vcc, s8, v8
	v_cvt_f64_f32_e32 v[8:9], v1
	v_mul_f64 v[14:15], v[8:9], s[2:3]
	v_lshl_or_b32 v2, v2, 9, v10
	v_and_or_b32 v1, v15, s6, v14
	v_cndmask_b32_e32 v2, v6, v2, vcc
	v_cmp_ne_u32_e32 vcc, 0, v1
	v_lshrrev_b32_e32 v6, 8, v15
	v_bfe_u32 v8, v15, 20, 11
	v_cndmask_b32_e64 v1, 0, 1, vcc
	v_and_or_b32 v1, v6, s7, v1
	v_sub_u32_e32 v9, 0x3f1, v8
	v_or_b32_e32 v6, 0x1000, v1
	v_med3_i32 v9, v9, 0, 13
	v_lshrrev_b32_e32 v11, v9, v6
	v_lshlrev_b32_e32 v9, v9, v11
	v_cmp_ne_u32_e32 vcc, v9, v6
	v_add_u32_e32 v8, 0xfffffc10, v8
	v_lshl_or_b32 v9, v8, 12, v1
	v_cndmask_b32_e64 v6, 0, 1, vcc
	v_or_b32_e32 v6, v11, v6
	v_cmp_gt_i32_e32 vcc, 1, v8
	v_bitop3_b32 v2, v5, s14, v2 bitop3:0xc8
	s_nop 0
	v_cndmask_b32_e32 v6, v9, v6, vcc
	v_and_b32_e32 v9, 7, v6
	v_cmp_lt_i32_e32 vcc, 5, v9
	v_cmp_eq_u32_e64 s[0:1], 3, v9
	v_lshrrev_b32_e32 v6, 2, v6
	s_or_b64 vcc, s[0:1], vcc
	v_addc_co_u32_e32 v6, vcc, 0, v6, vcc
	v_cmp_gt_i32_e32 vcc, 31, v8
	v_mad_u64_u32 v[12:13], s[0:1], s4, v40, v[12:13]
	s_nop 0
	v_cndmask_b32_e32 v6, v10, v6, vcc
	v_cmp_ne_u32_e32 vcc, 0, v1
	v_add_u32_e32 v13, s10, v13
	s_nop 0
	v_cndmask_b32_e64 v1, 0, 1, vcc
	v_cmp_eq_u32_e32 vcc, s8, v8
	ds_read2_b32 v[8:9], v41 offset0:108 offset1:117
	v_lshl_or_b32 v1, v1, 9, v10
	v_cndmask_b32_e32 v1, v6, v1, vcc
	v_lshrrev_b32_e32 v6, 16, v15
	v_and_or_b32 v1, v6, s9, v1
	v_lshl_or_b32 v1, v1, 16, v2
	s_waitcnt lgkmcnt(0)
	v_lshrrev_b32_e32 v2, 16, v8
	v_mul_f16_sdwa v5, v53, v2 dst_sel:DWORD dst_unused:UNUSED_PAD src0_sel:WORD_1 src1_sel:DWORD
	v_fma_f16 v5, v53, v8, v5
	v_cvt_f32_f16_e32 v5, v5
	global_store_dword v[12:13], v1, off
	v_mul_f16_sdwa v8, v53, v8 dst_sel:DWORD dst_unused:UNUSED_PAD src0_sel:WORD_1 src1_sel:DWORD
	v_fma_f16 v2, v53, v2, -v8
	v_cvt_f64_f32_e32 v[14:15], v5
	v_mul_f64 v[14:15], v[14:15], s[2:3]
	v_and_or_b32 v1, v15, s6, v14
	v_cmp_ne_u32_e32 vcc, 0, v1
	v_lshrrev_b32_e32 v5, 8, v15
	v_bfe_u32 v6, v15, 20, 11
	v_cndmask_b32_e64 v1, 0, 1, vcc
	v_and_or_b32 v1, v5, s7, v1
	v_sub_u32_e32 v11, 0x3f1, v6
	v_or_b32_e32 v5, 0x1000, v1
	v_med3_i32 v11, v11, 0, 13
	v_lshrrev_b32_e32 v14, v11, v5
	v_lshlrev_b32_e32 v11, v11, v14
	v_cmp_ne_u32_e32 vcc, v11, v5
	v_add_u32_e32 v6, 0xfffffc10, v6
	v_lshl_or_b32 v11, v6, 12, v1
	v_cndmask_b32_e64 v5, 0, 1, vcc
	v_or_b32_e32 v5, v14, v5
	v_cmp_gt_i32_e32 vcc, 1, v6
	v_cvt_f32_f16_e32 v2, v2
	s_nop 0
	v_cndmask_b32_e32 v5, v11, v5, vcc
	v_and_b32_e32 v11, 7, v5
	v_cmp_lt_i32_e32 vcc, 5, v11
	v_cmp_eq_u32_e64 s[0:1], 3, v11
	v_lshrrev_b32_e32 v5, 2, v5
	s_or_b64 vcc, s[0:1], vcc
	v_addc_co_u32_e32 v5, vcc, 0, v5, vcc
	v_cmp_gt_i32_e32 vcc, 31, v6
	s_nop 1
	v_cndmask_b32_e32 v5, v10, v5, vcc
	v_cmp_ne_u32_e32 vcc, 0, v1
	s_nop 1
	v_cndmask_b32_e64 v1, 0, 1, vcc
	v_lshl_or_b32 v1, v1, 9, v10
	v_cmp_eq_u32_e32 vcc, s8, v6
	s_nop 1
	v_cndmask_b32_e32 v1, v5, v1, vcc
	v_and_b32_sdwa v5, v15, s9 dst_sel:DWORD dst_unused:UNUSED_PAD src0_sel:WORD_1 src1_sel:DWORD
	v_cvt_f64_f32_e32 v[14:15], v2
	v_mul_f64 v[14:15], v[14:15], s[2:3]
	v_and_or_b32 v2, v15, s6, v14
	v_cmp_ne_u32_e32 vcc, 0, v2
	v_lshrrev_b32_e32 v6, 8, v15
	v_bfe_u32 v8, v15, 20, 11
	v_cndmask_b32_e64 v2, 0, 1, vcc
	v_and_or_b32 v2, v6, s7, v2
	v_sub_u32_e32 v11, 0x3f1, v8
	v_or_b32_e32 v6, 0x1000, v2
	v_med3_i32 v11, v11, 0, 13
	v_lshrrev_b32_e32 v14, v11, v6
	v_lshlrev_b32_e32 v11, v11, v14
	v_cmp_ne_u32_e32 vcc, v11, v6
	v_add_u32_e32 v8, 0xfffffc10, v8
	v_lshl_or_b32 v11, v8, 12, v2
	v_cndmask_b32_e64 v6, 0, 1, vcc
	v_or_b32_e32 v6, v14, v6
	v_cmp_gt_i32_e32 vcc, 1, v8
	v_bitop3_b32 v1, v5, s14, v1 bitop3:0xc8
	s_nop 0
	v_cndmask_b32_e32 v6, v11, v6, vcc
	v_and_b32_e32 v11, 7, v6
	v_cmp_lt_i32_e32 vcc, 5, v11
	v_cmp_eq_u32_e64 s[0:1], 3, v11
	v_lshrrev_b32_e32 v6, 2, v6
	s_or_b64 vcc, s[0:1], vcc
	v_addc_co_u32_e32 v6, vcc, 0, v6, vcc
	v_cmp_gt_i32_e32 vcc, 31, v8
	v_mad_u64_u32 v[12:13], s[0:1], s4, v40, v[12:13]
	s_nop 0
	v_cndmask_b32_e32 v6, v10, v6, vcc
	v_cmp_ne_u32_e32 vcc, 0, v2
	v_add_u32_e32 v13, s10, v13
	s_nop 0
	v_cndmask_b32_e64 v2, 0, 1, vcc
	v_lshl_or_b32 v2, v2, 9, v10
	v_cmp_eq_u32_e32 vcc, s8, v8
	s_nop 1
	v_cndmask_b32_e32 v2, v6, v2, vcc
	v_lshrrev_b32_e32 v6, 16, v15
	v_and_or_b32 v2, v6, s9, v2
	v_lshl_or_b32 v1, v2, 16, v1
	v_lshrrev_b32_e32 v2, 16, v7
	v_mul_f16_sdwa v5, v52, v2 dst_sel:DWORD dst_unused:UNUSED_PAD src0_sel:WORD_1 src1_sel:DWORD
	v_fma_f16 v5, v52, v7, v5
	v_cvt_f32_f16_e32 v5, v5
	global_store_dword v[12:13], v1, off
	v_mul_f16_sdwa v7, v52, v7 dst_sel:DWORD dst_unused:UNUSED_PAD src0_sel:WORD_1 src1_sel:DWORD
	v_fma_f16 v2, v52, v2, -v7
	v_cvt_f64_f32_e32 v[14:15], v5
	v_mul_f64 v[14:15], v[14:15], s[2:3]
	v_and_or_b32 v1, v15, s6, v14
	v_cmp_ne_u32_e32 vcc, 0, v1
	v_lshrrev_b32_e32 v5, 8, v15
	v_bfe_u32 v6, v15, 20, 11
	v_cndmask_b32_e64 v1, 0, 1, vcc
	v_and_or_b32 v1, v5, s7, v1
	v_sub_u32_e32 v8, 0x3f1, v6
	v_or_b32_e32 v5, 0x1000, v1
	v_med3_i32 v8, v8, 0, 13
	v_lshrrev_b32_e32 v11, v8, v5
	v_lshlrev_b32_e32 v8, v8, v11
	v_cmp_ne_u32_e32 vcc, v8, v5
	v_add_u32_e32 v6, 0xfffffc10, v6
	v_lshl_or_b32 v8, v6, 12, v1
	v_cndmask_b32_e64 v5, 0, 1, vcc
	v_or_b32_e32 v5, v11, v5
	v_cmp_gt_i32_e32 vcc, 1, v6
	v_cvt_f32_f16_e32 v2, v2
	s_nop 0
	v_cndmask_b32_e32 v5, v8, v5, vcc
	v_and_b32_e32 v8, 7, v5
	v_cmp_lt_i32_e32 vcc, 5, v8
	v_cmp_eq_u32_e64 s[0:1], 3, v8
	v_lshrrev_b32_e32 v5, 2, v5
	s_or_b64 vcc, s[0:1], vcc
	v_addc_co_u32_e32 v5, vcc, 0, v5, vcc
	v_cmp_gt_i32_e32 vcc, 31, v6
	s_nop 1
	v_cndmask_b32_e32 v5, v10, v5, vcc
	v_cmp_ne_u32_e32 vcc, 0, v1
	s_nop 1
	v_cndmask_b32_e64 v1, 0, 1, vcc
	v_cmp_eq_u32_e32 vcc, s8, v6
	v_cvt_f64_f32_e32 v[6:7], v2
	v_mul_f64 v[6:7], v[6:7], s[2:3]
	v_lshl_or_b32 v1, v1, 9, v10
	v_and_or_b32 v2, v7, s6, v6
	v_cndmask_b32_e32 v1, v5, v1, vcc
	v_cmp_ne_u32_e32 vcc, 0, v2
	v_lshrrev_b32_e32 v6, 8, v7
	v_bfe_u32 v8, v7, 20, 11
	v_cndmask_b32_e64 v2, 0, 1, vcc
	v_and_or_b32 v2, v6, s7, v2
	v_sub_u32_e32 v11, 0x3f1, v8
	v_or_b32_e32 v6, 0x1000, v2
	v_med3_i32 v11, v11, 0, 13
	v_lshrrev_b32_e32 v14, v11, v6
	v_lshlrev_b32_e32 v11, v11, v14
	v_cmp_ne_u32_e32 vcc, v11, v6
	v_add_u32_e32 v8, 0xfffffc10, v8
	v_lshl_or_b32 v11, v8, 12, v2
	v_cndmask_b32_e64 v6, 0, 1, vcc
	v_or_b32_e32 v6, v14, v6
	v_cmp_gt_i32_e32 vcc, 1, v8
	v_and_b32_sdwa v5, v15, s9 dst_sel:DWORD dst_unused:UNUSED_PAD src0_sel:WORD_1 src1_sel:DWORD
	v_bitop3_b32 v1, v5, s14, v1 bitop3:0xc8
	v_cndmask_b32_e32 v6, v11, v6, vcc
	v_and_b32_e32 v11, 7, v6
	v_cmp_lt_i32_e32 vcc, 5, v11
	v_cmp_eq_u32_e64 s[0:1], 3, v11
	v_lshrrev_b32_e32 v6, 2, v6
	s_or_b64 vcc, s[0:1], vcc
	v_addc_co_u32_e32 v6, vcc, 0, v6, vcc
	v_cmp_gt_i32_e32 vcc, 31, v8
	v_mad_u64_u32 v[12:13], s[0:1], s4, v44, v[12:13]
	s_nop 0
	v_cndmask_b32_e32 v6, v10, v6, vcc
	v_cmp_ne_u32_e32 vcc, 0, v2
	s_mul_i32 s0, s5, 0xfffffe74
	s_sub_i32 s5, s0, s4
	v_cndmask_b32_e64 v2, 0, 1, vcc
	v_lshl_or_b32 v2, v2, 9, v10
	v_cmp_eq_u32_e32 vcc, s8, v8
	v_add_u32_e32 v13, s5, v13
	s_nop 0
	v_cndmask_b32_e32 v2, v6, v2, vcc
	v_lshrrev_b32_e32 v6, 16, v7
	v_and_or_b32 v2, v6, s9, v2
	ds_read2_b32 v[6:7], v41 offset0:36 offset1:45
	v_lshl_or_b32 v1, v2, 16, v1
	global_store_dword v[12:13], v1, off
	s_waitcnt lgkmcnt(0)
	v_lshrrev_b32_e32 v2, 16, v6
	v_mul_f16_sdwa v5, v51, v2 dst_sel:DWORD dst_unused:UNUSED_PAD src0_sel:WORD_1 src1_sel:DWORD
	v_fma_f16 v5, v51, v6, v5
	v_cvt_f32_f16_e32 v5, v5
	v_mul_f16_sdwa v6, v51, v6 dst_sel:DWORD dst_unused:UNUSED_PAD src0_sel:WORD_1 src1_sel:DWORD
	v_fma_f16 v2, v51, v2, -v6
	v_cvt_f32_f16_e32 v2, v2
	v_cvt_f64_f32_e32 v[14:15], v5
	v_mul_f64 v[14:15], v[14:15], s[2:3]
	v_and_or_b32 v1, v15, s6, v14
	v_cmp_ne_u32_e32 vcc, 0, v1
	v_lshrrev_b32_e32 v5, 8, v15
	v_bfe_u32 v8, v15, 20, 11
	v_cndmask_b32_e64 v1, 0, 1, vcc
	v_and_or_b32 v1, v5, s7, v1
	v_sub_u32_e32 v11, 0x3f1, v8
	v_or_b32_e32 v5, 0x1000, v1
	v_med3_i32 v11, v11, 0, 13
	v_lshrrev_b32_e32 v14, v11, v5
	v_lshlrev_b32_e32 v11, v11, v14
	v_cmp_ne_u32_e32 vcc, v11, v5
	v_add_u32_e32 v8, 0xfffffc10, v8
	v_lshl_or_b32 v11, v8, 12, v1
	v_cndmask_b32_e64 v5, 0, 1, vcc
	v_or_b32_e32 v5, v14, v5
	v_cmp_gt_i32_e32 vcc, 1, v8
	s_nop 1
	v_cndmask_b32_e32 v5, v11, v5, vcc
	v_and_b32_e32 v11, 7, v5
	v_cmp_lt_i32_e32 vcc, 5, v11
	v_cmp_eq_u32_e64 s[0:1], 3, v11
	v_lshrrev_b32_e32 v5, 2, v5
	s_or_b64 vcc, s[0:1], vcc
	v_addc_co_u32_e32 v5, vcc, 0, v5, vcc
	v_cmp_gt_i32_e32 vcc, 31, v8
	s_nop 1
	v_cndmask_b32_e32 v5, v10, v5, vcc
	v_cmp_ne_u32_e32 vcc, 0, v1
	s_nop 1
	v_cndmask_b32_e64 v1, 0, 1, vcc
	v_lshl_or_b32 v1, v1, 9, v10
	v_cmp_eq_u32_e32 vcc, s8, v8
	s_nop 1
	v_cndmask_b32_e32 v1, v5, v1, vcc
	v_and_b32_sdwa v5, v15, s9 dst_sel:DWORD dst_unused:UNUSED_PAD src0_sel:WORD_1 src1_sel:DWORD
	v_cvt_f64_f32_e32 v[14:15], v2
	v_mul_f64 v[14:15], v[14:15], s[2:3]
	v_and_or_b32 v2, v15, s6, v14
	v_cmp_ne_u32_e32 vcc, 0, v2
	v_lshrrev_b32_e32 v6, 8, v15
	v_bfe_u32 v8, v15, 20, 11
	v_cndmask_b32_e64 v2, 0, 1, vcc
	v_and_or_b32 v2, v6, s7, v2
	v_sub_u32_e32 v11, 0x3f1, v8
	v_or_b32_e32 v6, 0x1000, v2
	v_med3_i32 v11, v11, 0, 13
	v_lshrrev_b32_e32 v14, v11, v6
	v_lshlrev_b32_e32 v11, v11, v14
	v_cmp_ne_u32_e32 vcc, v11, v6
	v_add_u32_e32 v8, 0xfffffc10, v8
	v_lshl_or_b32 v11, v8, 12, v2
	v_cndmask_b32_e64 v6, 0, 1, vcc
	v_or_b32_e32 v6, v14, v6
	v_cmp_gt_i32_e32 vcc, 1, v8
	v_bitop3_b32 v1, v5, s14, v1 bitop3:0xc8
	s_nop 0
	v_cndmask_b32_e32 v6, v11, v6, vcc
	v_and_b32_e32 v11, 7, v6
	v_cmp_lt_i32_e32 vcc, 5, v11
	v_cmp_eq_u32_e64 s[0:1], 3, v11
	v_lshrrev_b32_e32 v6, 2, v6
	s_or_b64 vcc, s[0:1], vcc
	v_addc_co_u32_e32 v6, vcc, 0, v6, vcc
	v_cmp_gt_i32_e32 vcc, 31, v8
	v_mad_u64_u32 v[12:13], s[0:1], s4, v40, v[12:13]
	s_nop 0
	v_cndmask_b32_e32 v6, v10, v6, vcc
	v_cmp_ne_u32_e32 vcc, 0, v2
	v_add_u32_e32 v13, s10, v13
	s_nop 0
	v_cndmask_b32_e64 v2, 0, 1, vcc
	v_lshl_or_b32 v2, v2, 9, v10
	v_cmp_eq_u32_e32 vcc, s8, v8
	s_nop 1
	v_cndmask_b32_e32 v2, v6, v2, vcc
	v_lshrrev_b32_e32 v6, 16, v15
	v_and_or_b32 v2, v6, s9, v2
	v_lshl_or_b32 v1, v2, 16, v1
	v_lshrrev_b32_e32 v2, 16, v3
	v_mul_f16_sdwa v5, v50, v2 dst_sel:DWORD dst_unused:UNUSED_PAD src0_sel:WORD_1 src1_sel:DWORD
	v_fma_f16 v5, v50, v3, v5
	v_cvt_f32_f16_e32 v5, v5
	global_store_dword v[12:13], v1, off
	v_mul_f16_sdwa v3, v50, v3 dst_sel:DWORD dst_unused:UNUSED_PAD src0_sel:WORD_1 src1_sel:DWORD
	v_fma_f16 v2, v50, v2, -v3
	v_cvt_f64_f32_e32 v[14:15], v5
	v_mul_f64 v[14:15], v[14:15], s[2:3]
	v_and_or_b32 v1, v15, s6, v14
	v_cmp_ne_u32_e32 vcc, 0, v1
	v_lshrrev_b32_e32 v5, 8, v15
	v_bfe_u32 v6, v15, 20, 11
	v_cndmask_b32_e64 v1, 0, 1, vcc
	v_and_or_b32 v1, v5, s7, v1
	v_sub_u32_e32 v8, 0x3f1, v6
	v_or_b32_e32 v5, 0x1000, v1
	v_med3_i32 v8, v8, 0, 13
	v_lshrrev_b32_e32 v11, v8, v5
	v_lshlrev_b32_e32 v8, v8, v11
	v_cmp_ne_u32_e32 vcc, v8, v5
	v_add_u32_e32 v6, 0xfffffc10, v6
	v_lshl_or_b32 v8, v6, 12, v1
	v_cndmask_b32_e64 v5, 0, 1, vcc
	v_or_b32_e32 v5, v11, v5
	v_cmp_gt_i32_e32 vcc, 1, v6
	v_cvt_f32_f16_e32 v2, v2
	v_cvt_f64_f32_e32 v[2:3], v2
	v_cndmask_b32_e32 v5, v8, v5, vcc
	v_and_b32_e32 v8, 7, v5
	v_cmp_lt_i32_e32 vcc, 5, v8
	v_cmp_eq_u32_e64 s[0:1], 3, v8
	v_lshrrev_b32_e32 v5, 2, v5
	s_or_b64 vcc, s[0:1], vcc
	v_addc_co_u32_e32 v5, vcc, 0, v5, vcc
	v_cmp_gt_i32_e32 vcc, 31, v6
	s_nop 1
	v_cndmask_b32_e32 v5, v10, v5, vcc
	v_cmp_ne_u32_e32 vcc, 0, v1
	s_nop 1
	v_cndmask_b32_e64 v1, 0, 1, vcc
	v_lshl_or_b32 v1, v1, 9, v10
	v_cmp_eq_u32_e32 vcc, s8, v6
	s_nop 1
	v_cndmask_b32_e32 v1, v5, v1, vcc
	v_and_b32_sdwa v5, v15, s9 dst_sel:DWORD dst_unused:UNUSED_PAD src0_sel:WORD_1 src1_sel:DWORD
	v_mul_f64 v[14:15], v[2:3], s[2:3]
	v_and_or_b32 v2, v15, s6, v14
	v_cmp_ne_u32_e32 vcc, 0, v2
	v_lshrrev_b32_e32 v3, 8, v15
	v_bfe_u32 v6, v15, 20, 11
	v_cndmask_b32_e64 v2, 0, 1, vcc
	v_and_or_b32 v2, v3, s7, v2
	v_sub_u32_e32 v8, 0x3f1, v6
	v_or_b32_e32 v3, 0x1000, v2
	v_med3_i32 v8, v8, 0, 13
	v_lshrrev_b32_e32 v11, v8, v3
	v_lshlrev_b32_e32 v8, v8, v11
	v_cmp_ne_u32_e32 vcc, v8, v3
	v_add_u32_e32 v6, 0xfffffc10, v6
	v_lshl_or_b32 v8, v6, 12, v2
	v_cndmask_b32_e64 v3, 0, 1, vcc
	v_or_b32_e32 v3, v11, v3
	v_cmp_gt_i32_e32 vcc, 1, v6
	v_bitop3_b32 v1, v5, s14, v1 bitop3:0xc8
	s_nop 0
	v_cndmask_b32_e32 v3, v8, v3, vcc
	v_and_b32_e32 v8, 7, v3
	v_cmp_lt_i32_e32 vcc, 5, v8
	v_cmp_eq_u32_e64 s[0:1], 3, v8
	v_lshrrev_b32_e32 v3, 2, v3
	s_or_b64 vcc, s[0:1], vcc
	v_addc_co_u32_e32 v3, vcc, 0, v3, vcc
	v_cmp_gt_i32_e32 vcc, 31, v6
	v_lshrrev_b32_e32 v8, 16, v15
	v_mad_u64_u32 v[12:13], s[0:1], s4, v40, v[12:13]
	v_cndmask_b32_e32 v3, v10, v3, vcc
	v_cmp_ne_u32_e32 vcc, 0, v2
	v_add_u32_e32 v13, s10, v13
	s_nop 0
	v_cndmask_b32_e64 v2, 0, 1, vcc
	v_lshl_or_b32 v2, v2, 9, v10
	v_cmp_eq_u32_e32 vcc, s8, v6
	s_nop 1
	v_cndmask_b32_e32 v6, v3, v2, vcc
	ds_read2_b32 v[2:3], v41 offset0:90 offset1:99
	v_and_or_b32 v6, v8, s9, v6
	v_lshl_or_b32 v1, v6, 16, v1
	global_store_dword v[12:13], v1, off
	s_waitcnt lgkmcnt(0)
	v_lshrrev_b32_e32 v5, 16, v2
	v_mul_f16_sdwa v6, v49, v5 dst_sel:DWORD dst_unused:UNUSED_PAD src0_sel:WORD_1 src1_sel:DWORD
	v_fma_f16 v6, v49, v2, v6
	v_cvt_f32_f16_e32 v6, v6
	v_mul_f16_sdwa v2, v49, v2 dst_sel:DWORD dst_unused:UNUSED_PAD src0_sel:WORD_1 src1_sel:DWORD
	v_fma_f16 v2, v49, v5, -v2
	v_cvt_f32_f16_e32 v2, v2
	v_cvt_f64_f32_e32 v[14:15], v6
	v_mul_f64 v[14:15], v[14:15], s[2:3]
	v_and_or_b32 v1, v15, s6, v14
	v_cmp_ne_u32_e32 vcc, 0, v1
	v_lshrrev_b32_e32 v6, 8, v15
	v_bfe_u32 v8, v15, 20, 11
	v_cndmask_b32_e64 v1, 0, 1, vcc
	v_and_or_b32 v1, v6, s7, v1
	v_sub_u32_e32 v11, 0x3f1, v8
	v_or_b32_e32 v6, 0x1000, v1
	v_med3_i32 v11, v11, 0, 13
	v_lshrrev_b32_e32 v14, v11, v6
	v_lshlrev_b32_e32 v11, v11, v14
	v_cmp_ne_u32_e32 vcc, v11, v6
	v_add_u32_e32 v8, 0xfffffc10, v8
	v_lshl_or_b32 v11, v8, 12, v1
	v_cndmask_b32_e64 v6, 0, 1, vcc
	v_or_b32_e32 v6, v14, v6
	v_cmp_gt_i32_e32 vcc, 1, v8
	v_and_b32_sdwa v5, v15, s9 dst_sel:DWORD dst_unused:UNUSED_PAD src0_sel:WORD_1 src1_sel:DWORD
	v_cvt_f64_f32_e32 v[14:15], v2
	v_cndmask_b32_e32 v6, v11, v6, vcc
	v_and_b32_e32 v11, 7, v6
	v_cmp_lt_i32_e32 vcc, 5, v11
	v_cmp_eq_u32_e64 s[0:1], 3, v11
	v_lshrrev_b32_e32 v6, 2, v6
	s_or_b64 vcc, s[0:1], vcc
	v_addc_co_u32_e32 v6, vcc, 0, v6, vcc
	v_cmp_gt_i32_e32 vcc, 31, v8
	v_mul_f64 v[14:15], v[14:15], s[2:3]
	v_and_or_b32 v2, v15, s6, v14
	v_cndmask_b32_e32 v6, v10, v6, vcc
	v_cmp_ne_u32_e32 vcc, 0, v1
	s_nop 1
	v_cndmask_b32_e64 v1, 0, 1, vcc
	v_lshl_or_b32 v1, v1, 9, v10
	v_cmp_eq_u32_e32 vcc, s8, v8
	v_bfe_u32 v8, v15, 20, 11
	v_sub_u32_e32 v11, 0x3f1, v8
	v_cndmask_b32_e32 v1, v6, v1, vcc
	v_cmp_ne_u32_e32 vcc, 0, v2
	v_lshrrev_b32_e32 v6, 8, v15
	v_med3_i32 v11, v11, 0, 13
	v_cndmask_b32_e64 v2, 0, 1, vcc
	v_and_or_b32 v2, v6, s7, v2
	v_or_b32_e32 v6, 0x1000, v2
	v_lshrrev_b32_e32 v14, v11, v6
	v_lshlrev_b32_e32 v11, v11, v14
	v_cmp_ne_u32_e32 vcc, v11, v6
	v_add_u32_e32 v8, 0xfffffc10, v8
	v_lshl_or_b32 v11, v8, 12, v2
	v_cndmask_b32_e64 v6, 0, 1, vcc
	v_or_b32_e32 v6, v14, v6
	v_cmp_gt_i32_e32 vcc, 1, v8
	v_bitop3_b32 v1, v5, s14, v1 bitop3:0xc8
	s_nop 0
	v_cndmask_b32_e32 v6, v11, v6, vcc
	v_and_b32_e32 v11, 7, v6
	v_cmp_lt_i32_e32 vcc, 5, v11
	v_cmp_eq_u32_e64 s[0:1], 3, v11
	v_lshrrev_b32_e32 v6, 2, v6
	s_or_b64 vcc, s[0:1], vcc
	v_addc_co_u32_e32 v6, vcc, 0, v6, vcc
	v_cmp_gt_i32_e32 vcc, 31, v8
	v_mad_u64_u32 v[12:13], s[0:1], s4, v40, v[12:13]
	s_nop 0
	v_cndmask_b32_e32 v6, v10, v6, vcc
	v_cmp_ne_u32_e32 vcc, 0, v2
	v_add_u32_e32 v13, s10, v13
	s_nop 0
	v_cndmask_b32_e64 v2, 0, 1, vcc
	v_lshl_or_b32 v2, v2, 9, v10
	v_cmp_eq_u32_e32 vcc, s8, v8
	s_nop 1
	v_cndmask_b32_e32 v2, v6, v2, vcc
	v_lshrrev_b32_e32 v6, 16, v15
	v_and_or_b32 v2, v6, s9, v2
	v_lshl_or_b32 v1, v2, 16, v1
	v_lshrrev_b32_e32 v2, 16, v9
	v_mul_f16_sdwa v5, v48, v2 dst_sel:DWORD dst_unused:UNUSED_PAD src0_sel:WORD_1 src1_sel:DWORD
	v_fma_f16 v5, v48, v9, v5
	v_cvt_f32_f16_e32 v5, v5
	global_store_dword v[12:13], v1, off
	v_cvt_f64_f32_e32 v[14:15], v5
	v_mul_f64 v[14:15], v[14:15], s[2:3]
	v_and_or_b32 v1, v15, s6, v14
	v_cmp_ne_u32_e32 vcc, 0, v1
	v_lshrrev_b32_e32 v5, 8, v15
	v_bfe_u32 v6, v15, 20, 11
	v_cndmask_b32_e64 v1, 0, 1, vcc
	v_and_or_b32 v1, v5, s7, v1
	v_sub_u32_e32 v8, 0x3f1, v6
	v_or_b32_e32 v5, 0x1000, v1
	v_med3_i32 v8, v8, 0, 13
	v_lshrrev_b32_e32 v11, v8, v5
	v_lshlrev_b32_e32 v8, v8, v11
	v_cmp_ne_u32_e32 vcc, v8, v5
	v_add_u32_e32 v6, 0xfffffc10, v6
	v_lshl_or_b32 v8, v6, 12, v1
	v_cndmask_b32_e64 v5, 0, 1, vcc
	v_or_b32_e32 v5, v11, v5
	v_cmp_gt_i32_e32 vcc, 1, v6
	s_nop 1
	v_cndmask_b32_e32 v5, v8, v5, vcc
	v_and_b32_e32 v8, 7, v5
	v_cmp_lt_i32_e32 vcc, 5, v8
	v_cmp_eq_u32_e64 s[0:1], 3, v8
	v_mul_f16_sdwa v8, v48, v9 dst_sel:DWORD dst_unused:UNUSED_PAD src0_sel:WORD_1 src1_sel:DWORD
	v_fma_f16 v2, v48, v2, -v8
	v_cvt_f32_f16_e32 v2, v2
	v_lshrrev_b32_e32 v5, 2, v5
	s_or_b64 vcc, s[0:1], vcc
	v_addc_co_u32_e32 v5, vcc, 0, v5, vcc
	v_cmp_gt_i32_e32 vcc, 31, v6
	v_cvt_f64_f32_e32 v[8:9], v2
	v_mul_f64 v[8:9], v[8:9], s[2:3]
	v_cndmask_b32_e32 v5, v10, v5, vcc
	v_cmp_ne_u32_e32 vcc, 0, v1
	v_and_or_b32 v2, v9, s6, v8
	v_bfe_u32 v8, v9, 20, 11
	v_cndmask_b32_e64 v1, 0, 1, vcc
	v_lshl_or_b32 v1, v1, 9, v10
	v_cmp_eq_u32_e32 vcc, s8, v6
	v_lshrrev_b32_e32 v6, 8, v9
	v_sub_u32_e32 v11, 0x3f1, v8
	v_cndmask_b32_e32 v1, v5, v1, vcc
	v_cmp_ne_u32_e32 vcc, 0, v2
	v_med3_i32 v11, v11, 0, 13
	v_add_u32_e32 v8, 0xfffffc10, v8
	v_cndmask_b32_e64 v2, 0, 1, vcc
	v_and_or_b32 v2, v6, s7, v2
	v_or_b32_e32 v6, 0x1000, v2
	v_lshrrev_b32_e32 v14, v11, v6
	v_lshlrev_b32_e32 v11, v11, v14
	v_cmp_ne_u32_e32 vcc, v11, v6
	v_lshl_or_b32 v11, v8, 12, v2
	v_and_b32_sdwa v5, v15, s9 dst_sel:DWORD dst_unused:UNUSED_PAD src0_sel:WORD_1 src1_sel:DWORD
	v_cndmask_b32_e64 v6, 0, 1, vcc
	v_or_b32_e32 v6, v14, v6
	v_cmp_gt_i32_e32 vcc, 1, v8
	v_bitop3_b32 v1, v5, s14, v1 bitop3:0xc8
	s_nop 0
	v_cndmask_b32_e32 v6, v11, v6, vcc
	v_and_b32_e32 v11, 7, v6
	v_cmp_lt_i32_e32 vcc, 5, v11
	v_cmp_eq_u32_e64 s[0:1], 3, v11
	v_lshrrev_b32_e32 v6, 2, v6
	s_or_b64 vcc, s[0:1], vcc
	v_addc_co_u32_e32 v6, vcc, 0, v6, vcc
	v_cmp_gt_i32_e32 vcc, 31, v8
	s_nop 1
	v_cndmask_b32_e32 v6, v10, v6, vcc
	v_cmp_ne_u32_e32 vcc, 0, v2
	s_nop 1
	v_cndmask_b32_e64 v2, 0, 1, vcc
	v_lshl_or_b32 v2, v2, 9, v10
	v_cmp_eq_u32_e32 vcc, s8, v8
	s_nop 1
	v_cndmask_b32_e32 v2, v6, v2, vcc
	v_lshrrev_b32_e32 v6, 16, v9
	v_and_or_b32 v2, v6, s9, v2
	v_lshl_or_b32 v1, v2, 16, v1
	v_lshrrev_b32_e32 v2, 16, v4
	v_mul_f16_sdwa v5, v47, v2 dst_sel:DWORD dst_unused:UNUSED_PAD src0_sel:WORD_1 src1_sel:DWORD
	v_fma_f16 v5, v47, v4, v5
	v_cvt_f32_f16_e32 v5, v5
	v_mad_u64_u32 v[8:9], s[0:1], s4, v40, v[12:13]
	v_add_u32_e32 v9, s10, v9
	v_cvt_f64_f32_e32 v[12:13], v5
	v_mul_f64 v[12:13], v[12:13], s[2:3]
	global_store_dword v[8:9], v1, off
	v_and_or_b32 v1, v13, s6, v12
	v_cmp_ne_u32_e32 vcc, 0, v1
	v_lshrrev_b32_e32 v5, 8, v13
	v_bfe_u32 v6, v13, 20, 11
	v_cndmask_b32_e64 v1, 0, 1, vcc
	v_and_or_b32 v1, v5, s7, v1
	v_sub_u32_e32 v11, 0x3f1, v6
	v_or_b32_e32 v5, 0x1000, v1
	v_med3_i32 v11, v11, 0, 13
	v_lshrrev_b32_e32 v12, v11, v5
	v_lshlrev_b32_e32 v11, v11, v12
	v_cmp_ne_u32_e32 vcc, v11, v5
	v_add_u32_e32 v6, 0xfffffc10, v6
	v_lshl_or_b32 v11, v6, 12, v1
	v_cndmask_b32_e64 v5, 0, 1, vcc
	v_or_b32_e32 v5, v12, v5
	v_cmp_gt_i32_e32 vcc, 1, v6
	v_mul_f16_sdwa v4, v47, v4 dst_sel:DWORD dst_unused:UNUSED_PAD src0_sel:WORD_1 src1_sel:DWORD
	v_fma_f16 v2, v47, v2, -v4
	v_cndmask_b32_e32 v5, v11, v5, vcc
	v_and_b32_e32 v11, 7, v5
	v_cmp_lt_i32_e32 vcc, 5, v11
	v_cmp_eq_u32_e64 s[0:1], 3, v11
	v_lshrrev_b32_e32 v5, 2, v5
	s_or_b64 vcc, s[0:1], vcc
	v_addc_co_u32_e32 v5, vcc, 0, v5, vcc
	v_cmp_gt_i32_e32 vcc, 31, v6
	v_cvt_f32_f16_e32 v2, v2
	s_nop 0
	v_cndmask_b32_e32 v5, v10, v5, vcc
	v_cmp_ne_u32_e32 vcc, 0, v1
	s_nop 1
	v_cndmask_b32_e64 v1, 0, 1, vcc
	v_lshl_or_b32 v1, v1, 9, v10
	v_cmp_eq_u32_e32 vcc, s8, v6
	v_and_b32_sdwa v6, v13, s9 dst_sel:DWORD dst_unused:UNUSED_PAD src0_sel:WORD_1 src1_sel:DWORD
	s_nop 0
	v_cndmask_b32_e32 v1, v5, v1, vcc
	v_cvt_f64_f32_e32 v[4:5], v2
	v_mul_f64 v[4:5], v[4:5], s[2:3]
	v_and_or_b32 v2, v5, s6, v4
	v_cmp_ne_u32_e32 vcc, 0, v2
	v_lshrrev_b32_e32 v4, 8, v5
	v_bfe_u32 v11, v5, 20, 11
	v_cndmask_b32_e64 v2, 0, 1, vcc
	v_and_or_b32 v2, v4, s7, v2
	v_sub_u32_e32 v12, 0x3f1, v11
	v_or_b32_e32 v4, 0x1000, v2
	v_med3_i32 v12, v12, 0, 13
	v_lshrrev_b32_e32 v13, v12, v4
	v_lshlrev_b32_e32 v12, v12, v13
	v_cmp_ne_u32_e32 vcc, v12, v4
	v_add_u32_e32 v11, 0xfffffc10, v11
	v_lshl_or_b32 v12, v11, 12, v2
	v_cndmask_b32_e64 v4, 0, 1, vcc
	v_or_b32_e32 v4, v13, v4
	v_cmp_gt_i32_e32 vcc, 1, v11
	v_bitop3_b32 v1, v6, s14, v1 bitop3:0xc8
	s_nop 0
	v_cndmask_b32_e32 v4, v12, v4, vcc
	v_and_b32_e32 v12, 7, v4
	v_cmp_lt_i32_e32 vcc, 5, v12
	v_cmp_eq_u32_e64 s[0:1], 3, v12
	v_lshrrev_b32_e32 v4, 2, v4
	s_or_b64 vcc, s[0:1], vcc
	v_addc_co_u32_e32 v4, vcc, 0, v4, vcc
	v_cmp_gt_i32_e32 vcc, 31, v11
	s_nop 1
	v_cndmask_b32_e32 v4, v10, v4, vcc
	v_cmp_ne_u32_e32 vcc, 0, v2
	s_nop 1
	v_cndmask_b32_e64 v2, 0, 1, vcc
	v_lshl_or_b32 v2, v2, 9, v10
	v_cmp_eq_u32_e32 vcc, s8, v11
	s_nop 1
	v_cndmask_b32_e32 v2, v4, v2, vcc
	v_lshrrev_b32_e32 v4, 16, v5
	v_and_or_b32 v2, v4, s9, v2
	v_lshl_or_b32 v1, v2, 16, v1
	v_lshrrev_b32_e32 v2, 16, v7
	v_mul_f16_sdwa v4, v45, v2 dst_sel:DWORD dst_unused:UNUSED_PAD src0_sel:WORD_1 src1_sel:DWORD
	v_fma_f16 v4, v45, v7, v4
	v_cvt_f32_f16_e32 v6, v4
	v_mad_u64_u32 v[4:5], s[0:1], s4, v44, v[8:9]
	v_add_u32_e32 v5, s5, v5
	v_cvt_f64_f32_e32 v[8:9], v6
	v_mul_f64 v[8:9], v[8:9], s[2:3]
	global_store_dword v[4:5], v1, off
	v_and_or_b32 v1, v9, s6, v8
	v_cmp_ne_u32_e32 vcc, 0, v1
	v_lshrrev_b32_e32 v6, 8, v9
	v_bfe_u32 v8, v9, 20, 11
	v_cndmask_b32_e64 v1, 0, 1, vcc
	v_and_or_b32 v1, v6, s7, v1
	v_sub_u32_e32 v11, 0x3f1, v8
	v_or_b32_e32 v6, 0x1000, v1
	v_med3_i32 v11, v11, 0, 13
	v_lshrrev_b32_e32 v12, v11, v6
	v_lshlrev_b32_e32 v11, v11, v12
	v_cmp_ne_u32_e32 vcc, v11, v6
	v_add_u32_e32 v8, 0xfffffc10, v8
	v_lshl_or_b32 v11, v8, 12, v1
	v_cndmask_b32_e64 v6, 0, 1, vcc
	v_or_b32_e32 v6, v12, v6
	v_cmp_gt_i32_e32 vcc, 1, v8
	v_mul_f16_sdwa v7, v45, v7 dst_sel:DWORD dst_unused:UNUSED_PAD src0_sel:WORD_1 src1_sel:DWORD
	v_fma_f16 v2, v45, v2, -v7
	v_cndmask_b32_e32 v6, v11, v6, vcc
	v_and_b32_e32 v11, 7, v6
	v_cmp_lt_i32_e32 vcc, 5, v11
	v_cmp_eq_u32_e64 s[0:1], 3, v11
	v_lshrrev_b32_e32 v6, 2, v6
	s_or_b64 vcc, s[0:1], vcc
	v_addc_co_u32_e32 v6, vcc, 0, v6, vcc
	v_cmp_gt_i32_e32 vcc, 31, v8
	v_cvt_f32_f16_e32 v2, v2
	s_nop 0
	v_cndmask_b32_e32 v6, v10, v6, vcc
	v_cmp_ne_u32_e32 vcc, 0, v1
	s_nop 1
	v_cndmask_b32_e64 v1, 0, 1, vcc
	v_lshl_or_b32 v1, v1, 9, v10
	v_cmp_eq_u32_e32 vcc, s8, v8
	v_and_b32_sdwa v8, v9, s9 dst_sel:DWORD dst_unused:UNUSED_PAD src0_sel:WORD_1 src1_sel:DWORD
	s_nop 0
	v_cndmask_b32_e32 v1, v6, v1, vcc
	v_cvt_f64_f32_e32 v[6:7], v2
	v_mul_f64 v[6:7], v[6:7], s[2:3]
	v_and_or_b32 v2, v7, s6, v6
	v_cmp_ne_u32_e32 vcc, 0, v2
	v_lshrrev_b32_e32 v6, 8, v7
	v_bfe_u32 v9, v7, 20, 11
	v_cndmask_b32_e64 v2, 0, 1, vcc
	v_and_or_b32 v2, v6, s7, v2
	v_sub_u32_e32 v11, 0x3f1, v9
	v_or_b32_e32 v6, 0x1000, v2
	v_med3_i32 v11, v11, 0, 13
	v_lshrrev_b32_e32 v12, v11, v6
	v_lshlrev_b32_e32 v11, v11, v12
	v_cmp_ne_u32_e32 vcc, v11, v6
	v_add_u32_e32 v9, 0xfffffc10, v9
	v_lshl_or_b32 v11, v9, 12, v2
	v_cndmask_b32_e64 v6, 0, 1, vcc
	v_or_b32_e32 v6, v12, v6
	v_cmp_gt_i32_e32 vcc, 1, v9
	v_bitop3_b32 v1, v8, s14, v1 bitop3:0xc8
	s_nop 0
	v_cndmask_b32_e32 v6, v11, v6, vcc
	v_and_b32_e32 v11, 7, v6
	v_cmp_lt_i32_e32 vcc, 5, v11
	v_cmp_eq_u32_e64 s[0:1], 3, v11
	v_lshrrev_b32_e32 v6, 2, v6
	s_or_b64 vcc, s[0:1], vcc
	v_addc_co_u32_e32 v6, vcc, 0, v6, vcc
	v_cmp_gt_i32_e32 vcc, 31, v9
	v_mad_u64_u32 v[4:5], s[0:1], s4, v40, v[4:5]
	s_nop 0
	v_cndmask_b32_e32 v6, v10, v6, vcc
	v_cmp_ne_u32_e32 vcc, 0, v2
	v_add_u32_e32 v5, s10, v5
	s_nop 0
	v_cndmask_b32_e64 v2, 0, 1, vcc
	v_lshl_or_b32 v2, v2, 9, v10
	v_cmp_eq_u32_e32 vcc, s8, v9
	s_nop 1
	v_cndmask_b32_e32 v2, v6, v2, vcc
	v_lshrrev_b32_e32 v6, 16, v7
	v_and_or_b32 v2, v6, s9, v2
	v_lshl_or_b32 v1, v2, 16, v1
	v_lshrrev_b32_e32 v2, 16, v0
	v_mul_f16_sdwa v6, v46, v2 dst_sel:DWORD dst_unused:UNUSED_PAD src0_sel:WORD_1 src1_sel:DWORD
	v_fma_f16 v6, v46, v0, v6
	v_cvt_f32_f16_e32 v6, v6
	global_store_dword v[4:5], v1, off
	v_mul_f16_sdwa v0, v46, v0 dst_sel:DWORD dst_unused:UNUSED_PAD src0_sel:WORD_1 src1_sel:DWORD
	v_fma_f16 v0, v46, v2, -v0
	v_cvt_f64_f32_e32 v[6:7], v6
	v_mul_f64 v[6:7], v[6:7], s[2:3]
	v_and_or_b32 v1, v7, s6, v6
	v_cmp_ne_u32_e32 vcc, 0, v1
	v_lshrrev_b32_e32 v6, 8, v7
	v_bfe_u32 v8, v7, 20, 11
	v_cndmask_b32_e64 v1, 0, 1, vcc
	v_and_or_b32 v1, v6, s7, v1
	v_sub_u32_e32 v9, 0x3f1, v8
	v_or_b32_e32 v6, 0x1000, v1
	v_med3_i32 v9, v9, 0, 13
	v_lshrrev_b32_e32 v11, v9, v6
	v_lshlrev_b32_e32 v9, v9, v11
	v_cmp_ne_u32_e32 vcc, v9, v6
	v_add_u32_e32 v8, 0xfffffc10, v8
	v_lshl_or_b32 v9, v8, 12, v1
	v_cndmask_b32_e64 v6, 0, 1, vcc
	v_or_b32_e32 v6, v11, v6
	v_cmp_gt_i32_e32 vcc, 1, v8
	v_cvt_f32_f16_e32 v0, v0
	s_nop 0
	v_cndmask_b32_e32 v6, v9, v6, vcc
	v_and_b32_e32 v9, 7, v6
	v_cmp_lt_i32_e32 vcc, 5, v9
	v_cmp_eq_u32_e64 s[0:1], 3, v9
	v_lshrrev_b32_e32 v6, 2, v6
	s_or_b64 vcc, s[0:1], vcc
	v_addc_co_u32_e32 v6, vcc, 0, v6, vcc
	v_cmp_gt_i32_e32 vcc, 31, v8
	s_nop 1
	v_cndmask_b32_e32 v6, v10, v6, vcc
	v_cmp_ne_u32_e32 vcc, 0, v1
	s_nop 1
	v_cndmask_b32_e64 v1, 0, 1, vcc
	v_lshl_or_b32 v1, v1, 9, v10
	v_cmp_eq_u32_e32 vcc, s8, v8
	s_nop 1
	v_cndmask_b32_e32 v2, v6, v1, vcc
	v_cvt_f64_f32_e32 v[0:1], v0
	v_mul_f64 v[0:1], v[0:1], s[2:3]
	v_and_or_b32 v0, v1, s6, v0
	v_cmp_ne_u32_e32 vcc, 0, v0
	v_and_b32_sdwa v6, v7, s9 dst_sel:DWORD dst_unused:UNUSED_PAD src0_sel:WORD_1 src1_sel:DWORD
	v_lshrrev_b32_e32 v7, 8, v1
	v_cndmask_b32_e64 v0, 0, 1, vcc
	v_bfe_u32 v8, v1, 20, 11
	v_and_or_b32 v0, v7, s7, v0
	v_sub_u32_e32 v9, 0x3f1, v8
	v_or_b32_e32 v7, 0x1000, v0
	v_med3_i32 v9, v9, 0, 13
	v_lshrrev_b32_e32 v11, v9, v7
	v_lshlrev_b32_e32 v9, v9, v11
	v_cmp_ne_u32_e32 vcc, v9, v7
	v_add_u32_e32 v8, 0xfffffc10, v8
	v_lshl_or_b32 v9, v8, 12, v0
	v_cndmask_b32_e64 v7, 0, 1, vcc
	v_or_b32_e32 v7, v11, v7
	v_cmp_gt_i32_e32 vcc, 1, v8
	v_lshrrev_b32_e32 v1, 16, v1
	s_nop 0
	v_cndmask_b32_e32 v7, v9, v7, vcc
	v_and_b32_e32 v9, 7, v7
	v_cmp_lt_i32_e32 vcc, 5, v9
	v_cmp_eq_u32_e64 s[0:1], 3, v9
	v_lshrrev_b32_e32 v7, 2, v7
	s_or_b64 vcc, s[0:1], vcc
	v_addc_co_u32_e32 v7, vcc, 0, v7, vcc
	v_cmp_gt_i32_e32 vcc, 31, v8
	s_nop 1
	v_cndmask_b32_e32 v7, v10, v7, vcc
	v_cmp_ne_u32_e32 vcc, 0, v0
	s_nop 1
	v_cndmask_b32_e64 v0, 0, 1, vcc
	v_lshl_or_b32 v0, v0, 9, v10
	v_cmp_eq_u32_e32 vcc, s8, v8
	s_nop 1
	v_cndmask_b32_e32 v0, v7, v0, vcc
	v_and_or_b32 v0, v1, s9, v0
	v_bitop3_b32 v1, v6, s14, v2 bitop3:0xc8
	v_lshrrev_b32_e32 v6, 16, v3
	v_lshl_or_b32 v2, v0, 16, v1
	v_mul_f16_sdwa v0, v43, v6 dst_sel:DWORD dst_unused:UNUSED_PAD src0_sel:WORD_1 src1_sel:DWORD
	v_fma_f16 v0, v43, v3, v0
	v_cvt_f32_f16_e32 v7, v0
	v_mad_u64_u32 v[0:1], s[0:1], s4, v40, v[4:5]
	v_add_u32_e32 v1, s10, v1
	v_cvt_f64_f32_e32 v[4:5], v7
	v_mul_f64 v[4:5], v[4:5], s[2:3]
	global_store_dword v[0:1], v2, off
	v_and_or_b32 v2, v5, s6, v4
	v_cmp_ne_u32_e32 vcc, 0, v2
	v_lshrrev_b32_e32 v4, 8, v5
	v_bfe_u32 v7, v5, 20, 11
	v_cndmask_b32_e64 v2, 0, 1, vcc
	v_and_or_b32 v2, v4, s7, v2
	v_sub_u32_e32 v8, 0x3f1, v7
	v_or_b32_e32 v4, 0x1000, v2
	v_med3_i32 v8, v8, 0, 13
	v_lshrrev_b32_e32 v9, v8, v4
	v_lshlrev_b32_e32 v8, v8, v9
	v_cmp_ne_u32_e32 vcc, v8, v4
	v_add_u32_e32 v7, 0xfffffc10, v7
	v_lshl_or_b32 v8, v7, 12, v2
	v_cndmask_b32_e64 v4, 0, 1, vcc
	v_or_b32_e32 v4, v9, v4
	v_cmp_gt_i32_e32 vcc, 1, v7
	v_mul_f16_sdwa v3, v43, v3 dst_sel:DWORD dst_unused:UNUSED_PAD src0_sel:WORD_1 src1_sel:DWORD
	v_fma_f16 v3, v43, v6, -v3
	v_cndmask_b32_e32 v4, v8, v4, vcc
	v_and_b32_e32 v8, 7, v4
	v_cmp_lt_i32_e32 vcc, 5, v8
	v_cmp_eq_u32_e64 s[0:1], 3, v8
	v_lshrrev_b32_e32 v4, 2, v4
	s_or_b64 vcc, s[0:1], vcc
	v_addc_co_u32_e32 v4, vcc, 0, v4, vcc
	v_cmp_gt_i32_e32 vcc, 31, v7
	v_cvt_f32_f16_e32 v3, v3
	v_and_b32_sdwa v5, v5, s9 dst_sel:DWORD dst_unused:UNUSED_PAD src0_sel:WORD_1 src1_sel:DWORD
	v_cndmask_b32_e32 v4, v10, v4, vcc
	v_cmp_ne_u32_e32 vcc, 0, v2
	s_nop 1
	v_cndmask_b32_e64 v2, 0, 1, vcc
	v_lshl_or_b32 v2, v2, 9, v10
	v_cmp_eq_u32_e32 vcc, s8, v7
	s_nop 1
	v_cndmask_b32_e32 v4, v4, v2, vcc
	v_cvt_f64_f32_e32 v[2:3], v3
	v_mul_f64 v[2:3], v[2:3], s[2:3]
	v_and_or_b32 v2, v3, s6, v2
	v_cmp_ne_u32_e32 vcc, 0, v2
	v_lshrrev_b32_e32 v6, 8, v3
	v_bfe_u32 v7, v3, 20, 11
	v_cndmask_b32_e64 v2, 0, 1, vcc
	v_and_or_b32 v2, v6, s7, v2
	v_sub_u32_e32 v8, 0x3f1, v7
	v_or_b32_e32 v6, 0x1000, v2
	v_med3_i32 v8, v8, 0, 13
	v_lshrrev_b32_e32 v9, v8, v6
	v_lshlrev_b32_e32 v8, v8, v9
	v_cmp_ne_u32_e32 vcc, v8, v6
	v_add_u32_e32 v7, 0xfffffc10, v7
	v_lshl_or_b32 v8, v7, 12, v2
	v_cndmask_b32_e64 v6, 0, 1, vcc
	v_or_b32_e32 v6, v9, v6
	v_cmp_gt_i32_e32 vcc, 1, v7
	v_lshrrev_b32_e32 v3, 16, v3
	s_nop 0
	v_cndmask_b32_e32 v6, v8, v6, vcc
	v_and_b32_e32 v8, 7, v6
	v_cmp_lt_i32_e32 vcc, 5, v8
	v_cmp_eq_u32_e64 s[0:1], 3, v8
	v_lshrrev_b32_e32 v6, 2, v6
	s_or_b64 vcc, s[0:1], vcc
	v_addc_co_u32_e32 v6, vcc, 0, v6, vcc
	v_cmp_gt_i32_e32 vcc, 31, v7
	v_mad_u64_u32 v[0:1], s[0:1], s4, v40, v[0:1]
	s_nop 0
	v_cndmask_b32_e32 v6, v10, v6, vcc
	v_cmp_ne_u32_e32 vcc, 0, v2
	v_add_u32_e32 v1, s10, v1
	s_nop 0
	v_cndmask_b32_e64 v2, 0, 1, vcc
	v_lshl_or_b32 v2, v2, 9, v10
	v_cmp_eq_u32_e32 vcc, s8, v7
	s_nop 1
	v_cndmask_b32_e32 v2, v6, v2, vcc
	ds_read_b32 v6, v41 offset:504
	v_and_or_b32 v2, v3, s9, v2
	v_bitop3_b32 v3, v5, s14, v4 bitop3:0xc8
	v_lshl_or_b32 v2, v2, 16, v3
	global_store_dword v[0:1], v2, off
	s_waitcnt lgkmcnt(0)
	v_lshrrev_b32_e32 v4, 16, v6
	v_mul_f16_sdwa v3, v42, v4 dst_sel:DWORD dst_unused:UNUSED_PAD src0_sel:WORD_1 src1_sel:DWORD
	v_fma_f16 v3, v42, v6, v3
	v_cvt_f32_f16_e32 v3, v3
	v_mul_f16_sdwa v6, v42, v6 dst_sel:DWORD dst_unused:UNUSED_PAD src0_sel:WORD_1 src1_sel:DWORD
	v_fma_f16 v4, v42, v4, -v6
	v_cvt_f32_f16_e32 v4, v4
	v_cvt_f64_f32_e32 v[2:3], v3
	v_mul_f64 v[2:3], v[2:3], s[2:3]
	v_and_or_b32 v2, v3, s6, v2
	v_cmp_ne_u32_e32 vcc, 0, v2
	v_lshrrev_b32_e32 v5, 8, v3
	v_bfe_u32 v7, v3, 20, 11
	v_cndmask_b32_e64 v2, 0, 1, vcc
	v_and_or_b32 v2, v5, s7, v2
	v_sub_u32_e32 v8, 0x3f1, v7
	v_or_b32_e32 v5, 0x1000, v2
	v_med3_i32 v8, v8, 0, 13
	v_lshrrev_b32_e32 v9, v8, v5
	v_lshlrev_b32_e32 v8, v8, v9
	v_cmp_ne_u32_e32 vcc, v8, v5
	v_add_u32_e32 v7, 0xfffffc10, v7
	v_lshl_or_b32 v8, v7, 12, v2
	v_cndmask_b32_e64 v5, 0, 1, vcc
	v_or_b32_e32 v5, v9, v5
	v_cmp_gt_i32_e32 vcc, 1, v7
	v_and_b32_sdwa v6, v3, s9 dst_sel:DWORD dst_unused:UNUSED_PAD src0_sel:WORD_1 src1_sel:DWORD
	s_nop 0
	v_cndmask_b32_e32 v5, v8, v5, vcc
	v_and_b32_e32 v8, 7, v5
	v_cmp_lt_i32_e32 vcc, 5, v8
	v_cmp_eq_u32_e64 s[0:1], 3, v8
	v_lshrrev_b32_e32 v5, 2, v5
	s_or_b64 vcc, s[0:1], vcc
	v_addc_co_u32_e32 v5, vcc, 0, v5, vcc
	v_cmp_gt_i32_e32 vcc, 31, v7
	s_nop 1
	v_cndmask_b32_e32 v5, v10, v5, vcc
	v_cmp_ne_u32_e32 vcc, 0, v2
	s_nop 1
	v_cndmask_b32_e64 v2, 0, 1, vcc
	v_lshl_or_b32 v2, v2, 9, v10
	v_cmp_eq_u32_e32 vcc, s8, v7
	s_nop 1
	v_cndmask_b32_e32 v5, v5, v2, vcc
	v_cvt_f64_f32_e32 v[2:3], v4
	v_mul_f64 v[2:3], v[2:3], s[2:3]
	v_and_or_b32 v2, v3, s6, v2
	v_cmp_ne_u32_e32 vcc, 0, v2
	v_lshrrev_b32_e32 v4, 8, v3
	v_bfe_u32 v7, v3, 20, 11
	v_cndmask_b32_e64 v2, 0, 1, vcc
	v_and_or_b32 v2, v4, s7, v2
	v_sub_u32_e32 v8, 0x3f1, v7
	v_or_b32_e32 v4, 0x1000, v2
	v_med3_i32 v8, v8, 0, 13
	v_lshrrev_b32_e32 v9, v8, v4
	v_lshlrev_b32_e32 v8, v8, v9
	v_cmp_ne_u32_e32 vcc, v8, v4
	v_add_u32_e32 v7, 0xfffffc10, v7
	v_lshl_or_b32 v8, v7, 12, v2
	v_cndmask_b32_e64 v4, 0, 1, vcc
	v_or_b32_e32 v4, v9, v4
	v_cmp_gt_i32_e32 vcc, 1, v7
	v_lshrrev_b32_e32 v3, 16, v3
	s_nop 0
	v_cndmask_b32_e32 v4, v8, v4, vcc
	v_and_b32_e32 v8, 7, v4
	v_cmp_lt_i32_e32 vcc, 5, v8
	v_cmp_eq_u32_e64 s[0:1], 3, v8
	v_lshrrev_b32_e32 v4, 2, v4
	s_or_b64 vcc, s[0:1], vcc
	v_addc_co_u32_e32 v4, vcc, 0, v4, vcc
	v_cmp_gt_i32_e32 vcc, 31, v7
	v_mad_u64_u32 v[0:1], s[0:1], s4, v40, v[0:1]
	s_nop 0
	v_cndmask_b32_e32 v4, v10, v4, vcc
	v_cmp_ne_u32_e32 vcc, 0, v2
	v_add_u32_e32 v1, s10, v1
	s_nop 0
	v_cndmask_b32_e64 v2, 0, 1, vcc
	v_lshl_or_b32 v2, v2, 9, v10
	v_cmp_eq_u32_e32 vcc, s8, v7
	s_nop 1
	v_cndmask_b32_e32 v2, v4, v2, vcc
	v_and_or_b32 v2, v3, s9, v2
	v_bitop3_b32 v3, v6, s14, v5 bitop3:0xc8
	v_lshl_or_b32 v2, v2, 16, v3
	global_store_dword v[0:1], v2, off
.LBB0_2:
	s_endpgm
	.section	.rodata,"a",@progbits
	.p2align	6, 0x0
	.amdhsa_kernel bluestein_single_back_len135_dim1_half_op_CI_CI
		.amdhsa_group_segment_fixed_size 7560
		.amdhsa_private_segment_fixed_size 0
		.amdhsa_kernarg_size 104
		.amdhsa_user_sgpr_count 2
		.amdhsa_user_sgpr_dispatch_ptr 0
		.amdhsa_user_sgpr_queue_ptr 0
		.amdhsa_user_sgpr_kernarg_segment_ptr 1
		.amdhsa_user_sgpr_dispatch_id 0
		.amdhsa_user_sgpr_kernarg_preload_length 0
		.amdhsa_user_sgpr_kernarg_preload_offset 0
		.amdhsa_user_sgpr_private_segment_size 0
		.amdhsa_uses_dynamic_stack 0
		.amdhsa_enable_private_segment 0
		.amdhsa_system_sgpr_workgroup_id_x 1
		.amdhsa_system_sgpr_workgroup_id_y 0
		.amdhsa_system_sgpr_workgroup_id_z 0
		.amdhsa_system_sgpr_workgroup_info 0
		.amdhsa_system_vgpr_workitem_id 0
		.amdhsa_next_free_vgpr 84
		.amdhsa_next_free_sgpr 21
		.amdhsa_accum_offset 84
		.amdhsa_reserve_vcc 1
		.amdhsa_float_round_mode_32 0
		.amdhsa_float_round_mode_16_64 0
		.amdhsa_float_denorm_mode_32 3
		.amdhsa_float_denorm_mode_16_64 3
		.amdhsa_dx10_clamp 1
		.amdhsa_ieee_mode 1
		.amdhsa_fp16_overflow 0
		.amdhsa_tg_split 0
		.amdhsa_exception_fp_ieee_invalid_op 0
		.amdhsa_exception_fp_denorm_src 0
		.amdhsa_exception_fp_ieee_div_zero 0
		.amdhsa_exception_fp_ieee_overflow 0
		.amdhsa_exception_fp_ieee_underflow 0
		.amdhsa_exception_fp_ieee_inexact 0
		.amdhsa_exception_int_div_zero 0
	.end_amdhsa_kernel
	.text
.Lfunc_end0:
	.size	bluestein_single_back_len135_dim1_half_op_CI_CI, .Lfunc_end0-bluestein_single_back_len135_dim1_half_op_CI_CI
                                        ; -- End function
	.section	.AMDGPU.csdata,"",@progbits
; Kernel info:
; codeLenInByte = 19576
; NumSgprs: 27
; NumVgprs: 84
; NumAgprs: 0
; TotalNumVgprs: 84
; ScratchSize: 0
; MemoryBound: 0
; FloatMode: 240
; IeeeMode: 1
; LDSByteSize: 7560 bytes/workgroup (compile time only)
; SGPRBlocks: 3
; VGPRBlocks: 10
; NumSGPRsForWavesPerEU: 27
; NumVGPRsForWavesPerEU: 84
; AccumOffset: 84
; Occupancy: 5
; WaveLimiterHint : 1
; COMPUTE_PGM_RSRC2:SCRATCH_EN: 0
; COMPUTE_PGM_RSRC2:USER_SGPR: 2
; COMPUTE_PGM_RSRC2:TRAP_HANDLER: 0
; COMPUTE_PGM_RSRC2:TGID_X_EN: 1
; COMPUTE_PGM_RSRC2:TGID_Y_EN: 0
; COMPUTE_PGM_RSRC2:TGID_Z_EN: 0
; COMPUTE_PGM_RSRC2:TIDIG_COMP_CNT: 0
; COMPUTE_PGM_RSRC3_GFX90A:ACCUM_OFFSET: 20
; COMPUTE_PGM_RSRC3_GFX90A:TG_SPLIT: 0
	.text
	.p2alignl 6, 3212836864
	.fill 256, 4, 3212836864
	.type	__hip_cuid_e796648df6663616,@object ; @__hip_cuid_e796648df6663616
	.section	.bss,"aw",@nobits
	.globl	__hip_cuid_e796648df6663616
__hip_cuid_e796648df6663616:
	.byte	0                               ; 0x0
	.size	__hip_cuid_e796648df6663616, 1

	.ident	"AMD clang version 19.0.0git (https://github.com/RadeonOpenCompute/llvm-project roc-6.4.0 25133 c7fe45cf4b819c5991fe208aaa96edf142730f1d)"
	.section	".note.GNU-stack","",@progbits
	.addrsig
	.addrsig_sym __hip_cuid_e796648df6663616
	.amdgpu_metadata
---
amdhsa.kernels:
  - .agpr_count:     0
    .args:
      - .actual_access:  read_only
        .address_space:  global
        .offset:         0
        .size:           8
        .value_kind:     global_buffer
      - .actual_access:  read_only
        .address_space:  global
        .offset:         8
        .size:           8
        .value_kind:     global_buffer
      - .actual_access:  read_only
        .address_space:  global
        .offset:         16
        .size:           8
        .value_kind:     global_buffer
      - .actual_access:  read_only
        .address_space:  global
        .offset:         24
        .size:           8
        .value_kind:     global_buffer
      - .actual_access:  read_only
        .address_space:  global
        .offset:         32
        .size:           8
        .value_kind:     global_buffer
      - .offset:         40
        .size:           8
        .value_kind:     by_value
      - .address_space:  global
        .offset:         48
        .size:           8
        .value_kind:     global_buffer
      - .address_space:  global
        .offset:         56
        .size:           8
        .value_kind:     global_buffer
      - .address_space:  global
        .offset:         64
        .size:           8
        .value_kind:     global_buffer
      - .address_space:  global
        .offset:         72
        .size:           8
        .value_kind:     global_buffer
      - .offset:         80
        .size:           4
        .value_kind:     by_value
      - .address_space:  global
        .offset:         88
        .size:           8
        .value_kind:     global_buffer
      - .address_space:  global
        .offset:         96
        .size:           8
        .value_kind:     global_buffer
    .group_segment_fixed_size: 7560
    .kernarg_segment_align: 8
    .kernarg_segment_size: 104
    .language:       OpenCL C
    .language_version:
      - 2
      - 0
    .max_flat_workgroup_size: 126
    .name:           bluestein_single_back_len135_dim1_half_op_CI_CI
    .private_segment_fixed_size: 0
    .sgpr_count:     27
    .sgpr_spill_count: 0
    .symbol:         bluestein_single_back_len135_dim1_half_op_CI_CI.kd
    .uniform_work_group_size: 1
    .uses_dynamic_stack: false
    .vgpr_count:     84
    .vgpr_spill_count: 0
    .wavefront_size: 64
amdhsa.target:   amdgcn-amd-amdhsa--gfx950
amdhsa.version:
  - 1
  - 2
...

	.end_amdgpu_metadata
